;; amdgpu-corpus repo=ROCm/rocFFT kind=compiled arch=gfx1100 opt=O3
	.text
	.amdgcn_target "amdgcn-amd-amdhsa--gfx1100"
	.amdhsa_code_object_version 6
	.protected	bluestein_single_back_len1020_dim1_dp_op_CI_CI ; -- Begin function bluestein_single_back_len1020_dim1_dp_op_CI_CI
	.globl	bluestein_single_back_len1020_dim1_dp_op_CI_CI
	.p2align	8
	.type	bluestein_single_back_len1020_dim1_dp_op_CI_CI,@function
bluestein_single_back_len1020_dim1_dp_op_CI_CI: ; @bluestein_single_back_len1020_dim1_dp_op_CI_CI
; %bb.0:
	s_load_b128 s[8:11], s[0:1], 0x28
	v_mul_u32_u24_e32 v1, 0x3c4, v0
	s_mov_b32 s2, exec_lo
	s_delay_alu instid0(VALU_DEP_1) | instskip(NEXT) | instid1(VALU_DEP_1)
	v_lshrrev_b32_e32 v1, 16, v1
	v_mad_u64_u32 v[4:5], null, s15, 3, v[1:2]
	v_mov_b32_e32 v5, 0
	s_waitcnt lgkmcnt(0)
	s_delay_alu instid0(VALU_DEP_1)
	v_cmpx_gt_u64_e64 s[8:9], v[4:5]
	s_cbranch_execz .LBB0_31
; %bb.1:
	s_clause 0x1
	s_load_b128 s[4:7], s[0:1], 0x18
	s_load_b64 s[2:3], s[0:1], 0x0
	v_mul_lo_u16 v1, 0x44, v1
	v_mov_b32_e32 v163, v4
	s_delay_alu instid0(VALU_DEP_2) | instskip(NEXT) | instid1(VALU_DEP_2)
	v_sub_nc_u16 v2, v0, v1
	v_mov_b32_e32 v52, v163
	v_mul_hi_u32 v118, 0xaaaaaaab, v163
	s_delay_alu instid0(VALU_DEP_3) | instskip(NEXT) | instid1(VALU_DEP_1)
	v_and_b32_e32 v164, 0xffff, v2
	v_lshlrev_b32_e32 v3, 4, v164
	s_delay_alu instid0(VALU_DEP_3)
	v_lshrrev_b32_e32 v118, 1, v118
	s_waitcnt lgkmcnt(0)
	s_load_b128 s[12:15], s[4:5], 0x0
	s_clause 0x3
	global_load_b128 v[119:122], v3, s[2:3]
	global_load_b128 v[123:126], v3, s[2:3] offset:1088
	global_load_b128 v[127:130], v3, s[2:3] offset:2176
	;; [unrolled: 1-line block ×3, first 2 shown]
	v_add_co_u32 v55, s4, s2, v3
	s_delay_alu instid0(VALU_DEP_1) | instskip(SKIP_1) | instid1(VALU_DEP_3)
	v_add_co_ci_u32_e64 v244, null, s3, 0, s4
	v_lshl_add_u32 v118, v118, 1, v118
	v_add_co_u32 v56, vcc_lo, 0x1000, v55
	s_delay_alu instid0(VALU_DEP_3)
	v_add_co_ci_u32_e32 v57, vcc_lo, 0, v244, vcc_lo
	v_add_co_u32 v6, vcc_lo, 0x2000, v55
	v_add_co_ci_u32_e32 v7, vcc_lo, 0, v244, vcc_lo
	v_add_co_u32 v60, vcc_lo, 0x3000, v55
	v_add_co_ci_u32_e32 v61, vcc_lo, 0, v244, vcc_lo
	s_waitcnt lgkmcnt(0)
	v_mad_u64_u32 v[0:1], null, s14, v4, 0
	v_mad_u64_u32 v[4:5], null, s12, v164, 0
	s_mul_i32 s3, s13, 0x1fe
	s_mul_hi_u32 s5, s12, 0x1fe
	s_mul_i32 s2, s12, 0x1fe
	s_add_i32 s3, s5, s3
	s_delay_alu instid0(VALU_DEP_2) | instskip(NEXT) | instid1(VALU_DEP_2)
	v_mad_u64_u32 v[8:9], null, s15, v163, v[1:2]
	v_mad_u64_u32 v[9:10], null, s13, v164, v[5:6]
	s_mul_hi_u32 s9, s12, 0xfffffe46
	s_mul_i32 s8, s13, 0xfffffe46
	s_sub_i32 s5, s9, s12
	s_mul_i32 s4, s12, 0xfffffe46
	s_delay_alu instid0(VALU_DEP_2) | instskip(SKIP_1) | instid1(VALU_DEP_2)
	v_mov_b32_e32 v1, v8
	s_add_i32 s5, s5, s8
	v_mov_b32_e32 v5, v9
	s_clause 0x2
	global_load_b128 v[147:150], v[56:57], off offset:4064
	global_load_b128 v[143:146], v[6:7], off offset:1056
	;; [unrolled: 1-line block ×3, first 2 shown]
	v_lshlrev_b64 v[0:1], 4, v[0:1]
	global_load_b128 v[135:138], v[6:7], off offset:3232
	v_lshlrev_b64 v[4:5], 4, v[4:5]
	s_clause 0x3
	global_load_b128 v[151:154], v[56:57], off offset:256
	global_load_b128 v[155:158], v[56:57], off offset:1344
	;; [unrolled: 1-line block ×4, first 2 shown]
	v_add_co_u32 v0, vcc_lo, s10, v0
	v_add_co_ci_u32_e32 v1, vcc_lo, s11, v1, vcc_lo
	s_lshl_b64 s[10:11], s[2:3], 4
	s_delay_alu instid0(VALU_DEP_2) | instskip(NEXT) | instid1(VALU_DEP_2)
	v_add_co_u32 v0, vcc_lo, v0, v4
	v_add_co_ci_u32_e32 v1, vcc_lo, v1, v5, vcc_lo
	s_lshl_b64 s[2:3], s[4:5], 4
	s_delay_alu instid0(VALU_DEP_2) | instskip(NEXT) | instid1(VALU_DEP_2)
	v_add_co_u32 v8, vcc_lo, v0, s10
	v_add_co_ci_u32_e32 v9, vcc_lo, s11, v1, vcc_lo
	s_delay_alu instid0(VALU_DEP_2) | instskip(NEXT) | instid1(VALU_DEP_2)
	v_add_co_u32 v12, vcc_lo, v8, s2
	v_add_co_ci_u32_e32 v13, vcc_lo, s3, v9, vcc_lo
	s_clause 0x1
	global_load_b128 v[4:7], v[0:1], off
	global_load_b128 v[8:11], v[8:9], off
	v_add_co_u32 v16, vcc_lo, v12, s10
	v_add_co_ci_u32_e32 v17, vcc_lo, s11, v13, vcc_lo
	s_delay_alu instid0(VALU_DEP_2) | instskip(NEXT) | instid1(VALU_DEP_2)
	v_add_co_u32 v20, vcc_lo, v16, s2
	v_add_co_ci_u32_e32 v21, vcc_lo, s3, v17, vcc_lo
	s_clause 0x1
	global_load_b128 v[12:15], v[12:13], off
	global_load_b128 v[16:19], v[16:17], off
	v_add_co_u32 v0, vcc_lo, v20, s10
	v_add_co_ci_u32_e32 v1, vcc_lo, s11, v21, vcc_lo
	scratch_store_b64 off, v[56:57], off offset:40 ; 8-byte Folded Spill
	v_add_co_u32 v28, vcc_lo, v0, s2
	v_add_co_ci_u32_e32 v29, vcc_lo, s3, v1, vcc_lo
	global_load_b128 v[24:27], v[0:1], off
	v_add_co_u32 v32, vcc_lo, v28, s10
	v_add_co_ci_u32_e32 v33, vcc_lo, s11, v29, vcc_lo
	global_load_b128 v[20:23], v[20:21], off
	;; [unrolled: 3-line block ×8, first 2 shown]
	global_load_b128 v[169:172], v[56:57], off offset:2432
	global_load_b128 v[56:59], v[53:54], off
	scratch_store_b64 off, v[60:61], off    ; 8-byte Folded Spill
	global_load_b128 v[173:176], v[60:61], off offset:2400
	global_load_b128 v[60:63], v[0:1], off
	v_cmp_gt_u16_e32 vcc_lo, 34, v2
	s_waitcnt vmcnt(27)
	scratch_store_b128 off, v[119:122], off offset:8 ; 16-byte Folded Spill
	s_waitcnt vmcnt(26)
	scratch_store_b128 off, v[123:126], off offset:24 ; 16-byte Folded Spill
	;; [unrolled: 2-line block ×12, first 2 shown]
	s_waitcnt vmcnt(15)
	v_mul_f64 v[53:54], v[6:7], v[121:122]
	v_mul_f64 v[64:65], v[4:5], v[121:122]
	s_waitcnt vmcnt(14)
	v_mul_f64 v[66:67], v[10:11], v[149:150]
	v_mul_f64 v[68:69], v[8:9], v[149:150]
	;; [unrolled: 3-line block ×8, first 2 shown]
	v_fma_f64 v[4:5], v[4:5], v[119:120], v[53:54]
	v_fma_f64 v[6:7], v[6:7], v[119:120], -v[64:65]
	v_fma_f64 v[8:9], v[8:9], v[147:148], v[66:67]
	s_waitcnt vmcnt(7)
	v_mul_f64 v[90:91], v[34:35], v[137:138]
	v_mul_f64 v[92:93], v[32:33], v[137:138]
	v_fma_f64 v[10:11], v[10:11], v[147:148], -v[68:69]
	scratch_store_b64 off, v[52:53], off offset:240 ; 8-byte Folded Spill
	v_sub_nc_u32_e32 v53, v163, v118
	s_waitcnt vmcnt(6)
	v_mul_f64 v[98:99], v[42:43], v[161:162]
	v_mul_f64 v[100:101], v[40:41], v[161:162]
	v_fma_f64 v[12:13], v[12:13], v[123:124], v[70:71]
	v_fma_f64 v[14:15], v[14:15], v[123:124], -v[72:73]
	v_fma_f64 v[16:17], v[16:17], v[143:144], v[74:75]
	s_waitcnt vmcnt(5)
	v_mul_f64 v[102:103], v[46:47], v[157:158]
	v_mul_f64 v[104:105], v[44:45], v[157:158]
	v_fma_f64 v[18:19], v[18:19], v[143:144], -v[76:77]
	v_mul_u32_u24_e32 v53, 0x3fc, v53
	s_waitcnt vmcnt(4)
	v_mul_f64 v[106:107], v[50:51], v[167:168]
	s_waitcnt vmcnt(2)
	v_mul_f64 v[110:111], v[58:59], v[171:172]
	v_mul_f64 v[112:113], v[56:57], v[171:172]
	;; [unrolled: 1-line block ×3, first 2 shown]
	s_waitcnt vmcnt(0)
	v_mul_f64 v[114:115], v[62:63], v[175:176]
	v_mul_f64 v[116:117], v[60:61], v[175:176]
	v_fma_f64 v[24:25], v[24:25], v[139:140], v[82:83]
	v_fma_f64 v[26:27], v[26:27], v[139:140], -v[84:85]
	v_fma_f64 v[20:21], v[20:21], v[127:128], v[78:79]
	v_fma_f64 v[22:23], v[22:23], v[127:128], -v[80:81]
	s_clause 0x1
	scratch_store_b128 off, v[169:172], off offset:208
	scratch_store_b128 off, v[173:176], off offset:224
	s_load_b64 s[8:9], s[0:1], 0x38
	s_load_b128 s[4:7], s[6:7], 0x0
	v_fma_f64 v[28:29], v[28:29], v[131:132], v[86:87]
	v_fma_f64 v[30:31], v[30:31], v[131:132], -v[88:89]
	v_lshlrev_b32_e32 v52, 4, v53
	v_fma_f64 v[36:37], v[36:37], v[151:152], v[94:95]
	v_fma_f64 v[38:39], v[38:39], v[151:152], -v[96:97]
	s_delay_alu instid0(VALU_DEP_3)
	v_add_nc_u32_e32 v53, v3, v52
	v_fma_f64 v[32:33], v[32:33], v[135:136], v[90:91]
	v_fma_f64 v[34:35], v[34:35], v[135:136], -v[92:93]
	v_fma_f64 v[40:41], v[40:41], v[159:160], v[98:99]
	v_fma_f64 v[42:43], v[42:43], v[159:160], -v[100:101]
	;; [unrolled: 2-line block ×3, first 2 shown]
	ds_store_b128 v53, v[4:7]
	ds_store_b128 v53, v[12:15] offset:1088
	ds_store_b128 v53, v[16:19] offset:9248
	;; [unrolled: 1-line block ×9, first 2 shown]
	v_fma_f64 v[56:57], v[56:57], v[169:170], v[110:111]
	v_fma_f64 v[58:59], v[58:59], v[169:170], -v[112:113]
	v_fma_f64 v[48:49], v[48:49], v[165:166], v[106:107]
	v_fma_f64 v[50:51], v[50:51], v[165:166], -v[108:109]
	v_fma_f64 v[60:61], v[60:61], v[173:174], v[114:115]
	v_fma_f64 v[62:63], v[62:63], v[173:174], -v[116:117]
	ds_store_b128 v53, v[8:11] offset:8160
	ds_store_b128 v53, v[56:59] offset:6528
	;; [unrolled: 1-line block ×4, first 2 shown]
	s_and_saveexec_b32 s12, vcc_lo
	s_cbranch_execz .LBB0_3
; %bb.2:
	v_add_co_u32 v0, s2, v0, s2
	s_delay_alu instid0(VALU_DEP_1) | instskip(NEXT) | instid1(VALU_DEP_2)
	v_add_co_ci_u32_e64 v1, s2, s3, v1, s2
	v_add_co_u32 v12, s2, v0, s10
	s_delay_alu instid0(VALU_DEP_1)
	v_add_co_ci_u32_e64 v13, s2, s11, v1, s2
	global_load_b128 v[0:3], v[0:1], off
	scratch_load_b64 v[4:5], off, off offset:40 ; 8-byte Folded Reload
	s_waitcnt vmcnt(0)
	global_load_b128 v[4:7], v[4:5], off offset:3520
	scratch_load_b64 v[8:9], off, off       ; 8-byte Folded Reload
	s_waitcnt vmcnt(0)
	global_load_b128 v[8:11], v[8:9], off offset:3488
	global_load_b128 v[12:15], v[12:13], off
	v_mul_f64 v[16:17], v[2:3], v[6:7]
	v_mul_f64 v[6:7], v[0:1], v[6:7]
	s_delay_alu instid0(VALU_DEP_2) | instskip(NEXT) | instid1(VALU_DEP_2)
	v_fma_f64 v[0:1], v[0:1], v[4:5], v[16:17]
	v_fma_f64 v[2:3], v[2:3], v[4:5], -v[6:7]
	s_waitcnt vmcnt(0)
	v_mul_f64 v[18:19], v[14:15], v[10:11]
	v_mul_f64 v[10:11], v[12:13], v[10:11]
	s_delay_alu instid0(VALU_DEP_2) | instskip(NEXT) | instid1(VALU_DEP_2)
	v_fma_f64 v[4:5], v[12:13], v[8:9], v[18:19]
	v_fma_f64 v[6:7], v[14:15], v[8:9], -v[10:11]
	ds_store_b128 v53, v[0:3] offset:7616
	ds_store_b128 v53, v[4:7] offset:15776
.LBB0_3:
	s_or_b32 exec_lo, exec_lo, s12
	s_waitcnt lgkmcnt(0)
	s_waitcnt_vscnt null, 0x0
	s_barrier
	buffer_gl0_inv
	ds_load_b128 v[4:7], v53
	ds_load_b128 v[8:11], v53 offset:1088
	ds_load_b128 v[64:67], v53 offset:9248
	;; [unrolled: 1-line block ×13, first 2 shown]
                                        ; implicit-def: $vgpr36_vgpr37
                                        ; implicit-def: $vgpr12_vgpr13
	s_and_saveexec_b32 s2, vcc_lo
	s_cbranch_execz .LBB0_5
; %bb.4:
	ds_load_b128 v[36:39], v53 offset:7616
	ds_load_b128 v[12:15], v53 offset:15776
.LBB0_5:
	s_or_b32 exec_lo, exec_lo, s2
	s_waitcnt lgkmcnt(3)
	v_add_f64 v[60:61], v[4:5], -v[60:61]
	v_add_f64 v[62:63], v[6:7], -v[62:63]
	;; [unrolled: 1-line block ×10, first 2 shown]
	s_waitcnt lgkmcnt(1)
	v_add_f64 v[120:121], v[24:25], -v[40:41]
	v_add_f64 v[122:123], v[26:27], -v[42:43]
	s_waitcnt lgkmcnt(0)
	v_add_f64 v[0:1], v[32:33], -v[0:1]
	v_add_f64 v[2:3], v[34:35], -v[2:3]
	;; [unrolled: 1-line block ×4, first 2 shown]
	s_load_b64 s[2:3], s[0:1], 0x8
	v_add_co_u32 v40, s0, 0x44, v164
	s_delay_alu instid0(VALU_DEP_1)
	v_add_co_ci_u32_e64 v41, null, 0, 0, s0
	v_add_co_u32 v245, null, 0x88, v164
	v_add_co_u32 v42, null, 0xcc, v164
	;; [unrolled: 1-line block ×3, first 2 shown]
	s_waitcnt lgkmcnt(0)
	s_barrier
	buffer_gl0_inv
	v_fma_f64 v[104:105], v[4:5], 2.0, -v[60:61]
	v_fma_f64 v[106:107], v[6:7], 2.0, -v[62:63]
	;; [unrolled: 1-line block ×16, first 2 shown]
	v_add_co_u32 v39, s0, 0x154, v164
	s_delay_alu instid0(VALU_DEP_1)
	v_add_co_ci_u32_e64 v16, null, 0, 0, s0
	v_add_co_u32 v43, s0, 0x198, v164
	v_add_co_u32 v38, null, 0x1dc, v164
	v_add_co_ci_u32_e64 v16, null, 0, 0, s0
	v_lshl_add_u32 v17, v164, 5, v52
	v_lshl_add_u32 v18, v40, 5, v52
	;; [unrolled: 1-line block ×8, first 2 shown]
	s_clause 0x1
	scratch_store_b32 off, v17, off offset:252
	scratch_store_b32 off, v16, off offset:500
	ds_store_b128 v17, v[104:107]
	ds_store_b128 v17, v[60:63] offset:16
	ds_store_b128 v18, v[4:7]
	scratch_store_b32 off, v18, off offset:260 ; 4-byte Folded Spill
	ds_store_b128 v18, v[64:67] offset:16
	ds_store_b128 v19, v[68:71]
	scratch_store_b32 off, v19, off offset:268 ; 4-byte Folded Spill
	ds_store_b128 v19, v[76:79] offset:16
	ds_store_b128 v20, v[92:95]
	scratch_store_b32 off, v20, off offset:276 ; 4-byte Folded Spill
	ds_store_b128 v20, v[116:119] offset:16
	ds_store_b128 v21, v[128:131]
	scratch_store_b32 off, v21, off offset:284 ; 4-byte Folded Spill
	ds_store_b128 v21, v[124:127] offset:16
	ds_store_b128 v22, v[132:135]
	scratch_store_b32 off, v22, off offset:292 ; 4-byte Folded Spill
	ds_store_b128 v22, v[120:123] offset:16
	ds_store_b128 v23, v[136:139]
	scratch_store_b32 off, v23, off offset:300 ; 4-byte Folded Spill
	ds_store_b128 v23, v[0:3] offset:16
	s_and_saveexec_b32 s0, vcc_lo
	s_cbranch_execz .LBB0_7
; %bb.6:
	v_lshl_add_u32 v16, v38, 5, v52
	ds_store_b128 v16, v[8:11]
	ds_store_b128 v16, v[12:15] offset:16
.LBB0_7:
	s_or_b32 exec_lo, exec_lo, s0
	v_cmp_gt_u16_e64 s0, 60, v164
	s_waitcnt lgkmcnt(0)
	s_waitcnt_vscnt null, 0x0
	s_barrier
	buffer_gl0_inv
                                        ; implicit-def: $vgpr16_vgpr17
	s_and_saveexec_b32 s1, s0
	s_cbranch_execz .LBB0_9
; %bb.8:
	ds_load_b128 v[104:107], v53
	ds_load_b128 v[60:63], v53 offset:960
	ds_load_b128 v[4:7], v53 offset:1920
	;; [unrolled: 1-line block ×16, first 2 shown]
.LBB0_9:
	s_or_b32 exec_lo, exec_lo, s1
	v_and_b32_e32 v20, 1, v164
	s_mov_b32 s18, 0x5d8e7cdc
	s_mov_b32 s19, 0xbfd71e95
	;; [unrolled: 1-line block ×4, first 2 shown]
	scratch_store_b32 off, v20, off offset:248 ; 4-byte Folded Spill
	v_lshlrev_b32_e32 v20, 8, v20
	s_mov_b32 s15, 0x3fedd6d0
	s_mov_b32 s13, 0xbfe58eea
	;; [unrolled: 1-line block ×3, first 2 shown]
	s_clause 0x3
	global_load_b128 v[140:143], v20, s[2:3]
	global_load_b128 v[84:87], v20, s[2:3] offset:16
	global_load_b128 v[112:115], v20, s[2:3] offset:240
	;; [unrolled: 1-line block ×3, first 2 shown]
	s_mov_b32 s11, 0x3fe7a5f6
	s_mov_b32 s26, 0x7c9e640b
	;; [unrolled: 1-line block ×35, first 2 shown]
	v_mov_b32_e32 v54, v164
	s_mov_b32 s55, 0x3fe58eea
	s_mov_b32 s54, s12
	s_waitcnt vmcnt(3) lgkmcnt(15)
	v_mul_f64 v[24:25], v[60:61], v[142:143]
	v_mul_f64 v[21:22], v[62:63], v[142:143]
	s_delay_alu instid0(VALU_DEP_2) | instskip(SKIP_2) | instid1(VALU_DEP_3)
	v_fma_f64 v[26:27], v[62:63], v[140:141], v[24:25]
	s_waitcnt vmcnt(1) lgkmcnt(0)
	v_mul_f64 v[24:25], v[16:17], v[114:115]
	v_fma_f64 v[22:23], v[60:61], v[140:141], -v[21:22]
	s_delay_alu instid0(VALU_DEP_2) | instskip(SKIP_1) | instid1(VALU_DEP_1)
	v_fma_f64 v[34:35], v[18:19], v[112:113], v[24:25]
	v_mul_f64 v[18:19], v[18:19], v[114:115]
	v_fma_f64 v[44:45], v[16:17], v[112:113], -v[18:19]
	v_mul_f64 v[16:17], v[6:7], v[86:87]
	s_delay_alu instid0(VALU_DEP_1) | instskip(SKIP_1) | instid1(VALU_DEP_1)
	v_fma_f64 v[50:51], v[4:5], v[84:85], -v[16:17]
	v_mul_f64 v[4:5], v[4:5], v[86:87]
	v_fma_f64 v[60:61], v[6:7], v[84:85], v[4:5]
	s_waitcnt vmcnt(0)
	v_mul_f64 v[4:5], v[12:13], v[98:99]
	s_delay_alu instid0(VALU_DEP_1) | instskip(SKIP_1) | instid1(VALU_DEP_2)
	v_fma_f64 v[46:47], v[14:15], v[96:97], v[4:5]
	v_mul_f64 v[4:5], v[14:15], v[98:99]
	v_add_f64 v[204:205], v[60:61], -v[46:47]
	s_delay_alu instid0(VALU_DEP_2)
	v_fma_f64 v[48:49], v[12:13], v[96:97], -v[4:5]
	s_clause 0x3
	global_load_b128 v[72:75], v20, s[2:3] offset:32
	global_load_b128 v[12:15], v20, s[2:3] offset:48
	;; [unrolled: 1-line block ×4, first 2 shown]
	v_add_f64 v[146:147], v[60:61], v[46:47]
	v_add_f64 v[170:171], v[50:51], -v[48:49]
	s_delay_alu instid0(VALU_DEP_1)
	v_mul_f64 v[16:17], v[170:171], s[12:13]
	v_mul_f64 v[242:243], v[170:171], s[24:25]
	;; [unrolled: 1-line block ×3, first 2 shown]
	s_waitcnt vmcnt(3)
	v_mul_f64 v[4:5], v[66:67], v[74:75]
	s_waitcnt vmcnt(2)
	scratch_store_b128 off, v[12:15], off offset:308 ; 16-byte Folded Spill
	v_fma_f64 v[62:63], v[64:65], v[72:73], -v[4:5]
	v_mul_f64 v[4:5], v[64:65], v[74:75]
	s_delay_alu instid0(VALU_DEP_1) | instskip(SKIP_2) | instid1(VALU_DEP_1)
	v_fma_f64 v[64:65], v[66:67], v[72:73], v[4:5]
	s_waitcnt vmcnt(1)
	v_mul_f64 v[4:5], v[10:11], v[82:83]
	v_fma_f64 v[66:67], v[8:9], v[80:81], -v[4:5]
	v_mul_f64 v[4:5], v[8:9], v[82:83]
	s_delay_alu instid0(VALU_DEP_2) | instskip(NEXT) | instid1(VALU_DEP_2)
	v_add_f64 v[150:151], v[62:63], v[66:67]
	v_fma_f64 v[238:239], v[10:11], v[80:81], v[4:5]
	v_mul_f64 v[4:5], v[70:71], v[14:15]
	v_add_f64 v[10:11], v[22:23], -v[44:45]
	v_add_f64 v[172:173], v[62:63], -v[66:67]
	s_delay_alu instid0(VALU_DEP_4) | instskip(NEXT) | instid1(VALU_DEP_4)
	v_add_f64 v[216:217], v[64:65], -v[238:239]
	v_fma_f64 v[18:19], v[68:69], v[12:13], -v[4:5]
	v_mul_f64 v[4:5], v[68:69], v[14:15]
	v_add_f64 v[166:167], v[64:65], v[238:239]
	v_mul_f64 v[254:255], v[172:173], s[38:39]
	v_mul_f64 v[202:203], v[172:173], s[42:43]
	;; [unrolled: 1-line block ×3, first 2 shown]
	v_fma_f64 v[24:25], v[70:71], v[12:13], v[4:5]
	s_waitcnt vmcnt(0)
	v_mul_f64 v[4:5], v[2:3], v[90:91]
	s_delay_alu instid0(VALU_DEP_1) | instskip(SKIP_1) | instid1(VALU_DEP_2)
	v_fma_f64 v[68:69], v[0:1], v[88:89], -v[4:5]
	v_mul_f64 v[0:1], v[0:1], v[90:91]
	v_add_f64 v[162:163], v[18:19], v[68:69]
	s_delay_alu instid0(VALU_DEP_2)
	v_fma_f64 v[70:71], v[2:3], v[88:89], v[0:1]
	s_clause 0x1
	global_load_b128 v[2:5], v20, s[2:3] offset:64
	global_load_b128 v[6:9], v20, s[2:3] offset:80
	v_add_f64 v[182:183], v[18:19], -v[68:69]
	v_add_f64 v[218:219], v[24:25], -v[70:71]
	v_add_f64 v[174:175], v[24:25], v[70:71]
	s_delay_alu instid0(VALU_DEP_3) | instskip(NEXT) | instid1(VALU_DEP_3)
	v_mul_f64 v[160:161], v[182:183], s[50:51]
	v_mul_f64 v[246:247], v[218:219], s[50:51]
	;; [unrolled: 1-line block ×3, first 2 shown]
	s_waitcnt vmcnt(1)
	scratch_store_b128 off, v[2:5], off offset:324 ; 16-byte Folded Spill
	s_clause 0x1
	global_load_b128 v[108:111], v20, s[2:3] offset:176
	global_load_b128 v[100:103], v20, s[2:3] offset:160
	v_mul_f64 v[0:1], v[78:79], v[4:5]
	s_waitcnt vmcnt(2)
	scratch_store_b128 off, v[6:9], off offset:340 ; 16-byte Folded Spill
	v_fma_f64 v[28:29], v[76:77], v[2:3], -v[0:1]
	v_mul_f64 v[0:1], v[76:77], v[4:5]
	v_add_f64 v[4:5], v[26:27], -v[34:35]
	s_delay_alu instid0(VALU_DEP_2) | instskip(SKIP_3) | instid1(VALU_DEP_1)
	v_fma_f64 v[30:31], v[78:79], v[2:3], v[0:1]
	v_add_f64 v[2:3], v[22:23], v[44:45]
	s_waitcnt vmcnt(1)
	v_mul_f64 v[0:1], v[138:139], v[110:111]
	v_fma_f64 v[32:33], v[136:137], v[108:109], -v[0:1]
	v_mul_f64 v[0:1], v[136:137], v[110:111]
	s_delay_alu instid0(VALU_DEP_2) | instskip(NEXT) | instid1(VALU_DEP_2)
	v_add_f64 v[178:179], v[28:29], v[32:33]
	v_fma_f64 v[136:137], v[138:139], v[108:109], v[0:1]
	v_mul_f64 v[0:1], v[94:95], v[8:9]
	v_add_f64 v[214:215], v[28:29], -v[32:33]
	s_delay_alu instid0(VALU_DEP_3) | instskip(NEXT) | instid1(VALU_DEP_3)
	v_add_f64 v[228:229], v[30:31], -v[136:137]
	v_fma_f64 v[56:57], v[92:93], v[6:7], -v[0:1]
	v_mul_f64 v[0:1], v[92:93], v[8:9]
	v_mul_f64 v[8:9], v[204:205], s[12:13]
	v_add_f64 v[192:193], v[30:31], v[136:137]
	v_mul_f64 v[168:169], v[214:215], s[40:41]
	v_mul_f64 v[248:249], v[228:229], s[40:41]
	;; [unrolled: 1-line block ×3, first 2 shown]
	v_fma_f64 v[58:59], v[94:95], v[6:7], v[0:1]
	s_clause 0x1
	global_load_b128 v[76:79], v20, s[2:3] offset:96
	global_load_b128 v[92:95], v20, s[2:3] offset:112
	s_waitcnt vmcnt(2)
	v_mul_f64 v[0:1], v[122:123], v[102:103]
	s_delay_alu instid0(VALU_DEP_1) | instskip(SKIP_1) | instid1(VALU_DEP_2)
	v_fma_f64 v[138:139], v[120:121], v[100:101], -v[0:1]
	v_mul_f64 v[0:1], v[120:121], v[102:103]
	v_add_f64 v[188:189], v[56:57], v[138:139]
	s_delay_alu instid0(VALU_DEP_2) | instskip(SKIP_1) | instid1(VALU_DEP_2)
	v_fma_f64 v[36:37], v[122:123], v[100:101], v[0:1]
	v_add_f64 v[224:225], v[56:57], -v[138:139]
	v_add_f64 v[232:233], v[58:59], -v[36:37]
	v_add_f64 v[196:197], v[58:59], v[36:37]
	s_delay_alu instid0(VALU_DEP_3) | instskip(NEXT) | instid1(VALU_DEP_3)
	v_mul_f64 v[190:191], v[224:225], s[44:45]
	v_mul_f64 v[250:251], v[232:233], s[44:45]
	;; [unrolled: 1-line block ×3, first 2 shown]
	s_waitcnt vmcnt(1)
	v_mul_f64 v[0:1], v[118:119], v[78:79]
	s_delay_alu instid0(VALU_DEP_1) | instskip(SKIP_1) | instid1(VALU_DEP_1)
	v_fma_f64 v[144:145], v[116:117], v[76:77], -v[0:1]
	v_mul_f64 v[0:1], v[116:117], v[78:79]
	v_fma_f64 v[148:149], v[118:119], v[76:77], v[0:1]
	s_clause 0x1
	global_load_b128 v[116:119], v20, s[2:3] offset:144
	global_load_b128 v[120:123], v20, s[2:3] offset:128
	s_clause 0x3
	scratch_store_b64 off, v[18:19], off offset:356
	scratch_store_b64 off, v[24:25], off offset:372
	scratch_store_b64 off, v[8:9], off offset:524
	scratch_store_b64 off, v[16:17], off offset:532
	v_fma_f64 v[16:17], v[146:147], s[10:11], -v[16:17]
	v_fma_f64 v[18:19], v[146:147], s[20:21], -v[242:243]
	s_waitcnt vmcnt(1)
	v_mul_f64 v[0:1], v[134:135], v[118:119]
	s_delay_alu instid0(VALU_DEP_1) | instskip(SKIP_1) | instid1(VALU_DEP_2)
	v_fma_f64 v[20:21], v[132:133], v[116:117], -v[0:1]
	v_mul_f64 v[0:1], v[132:133], v[118:119]
	v_add_f64 v[200:201], v[144:145], v[20:21]
	s_delay_alu instid0(VALU_DEP_2) | instskip(SKIP_2) | instid1(VALU_DEP_3)
	v_fma_f64 v[132:133], v[134:135], v[116:117], v[0:1]
	v_mul_f64 v[0:1], v[130:131], v[94:95]
	v_add_f64 v[226:227], v[144:145], -v[20:21]
	v_add_f64 v[234:235], v[148:149], -v[132:133]
	s_delay_alu instid0(VALU_DEP_3)
	v_fma_f64 v[134:135], v[128:129], v[92:93], -v[0:1]
	v_mul_f64 v[0:1], v[128:129], v[94:95]
	v_add_f64 v[206:207], v[148:149], v[132:133]
	v_mul_f64 v[194:195], v[226:227], s[48:49]
	v_mul_f64 v[252:253], v[234:235], s[48:49]
	;; [unrolled: 1-line block ×3, first 2 shown]
	v_fma_f64 v[130:131], v[130:131], v[92:93], v[0:1]
	s_waitcnt vmcnt(0)
	v_mul_f64 v[0:1], v[126:127], v[122:123]
	s_delay_alu instid0(VALU_DEP_1) | instskip(SKIP_1) | instid1(VALU_DEP_2)
	v_fma_f64 v[128:129], v[124:125], v[120:121], -v[0:1]
	v_mul_f64 v[0:1], v[124:125], v[122:123]
	v_add_f64 v[210:211], v[134:135], v[128:129]
	s_delay_alu instid0(VALU_DEP_2) | instskip(SKIP_3) | instid1(VALU_DEP_4)
	v_fma_f64 v[124:125], v[126:127], v[120:121], v[0:1]
	v_mul_f64 v[0:1], v[4:5], s[18:19]
	v_add_f64 v[126:127], v[50:51], v[48:49]
	v_add_f64 v[230:231], v[134:135], -v[128:129]
	v_add_f64 v[236:237], v[130:131], -v[124:125]
	s_delay_alu instid0(VALU_DEP_4) | instskip(NEXT) | instid1(VALU_DEP_4)
	v_fma_f64 v[6:7], v[2:3], s[14:15], v[0:1]
	v_fma_f64 v[8:9], v[126:127], s[10:11], v[8:9]
	v_add_f64 v[220:221], v[130:131], v[124:125]
	v_mul_f64 v[222:223], v[230:231], s[52:53]
	v_mul_f64 v[176:177], v[236:237], s[46:47]
	v_add_f64 v[6:7], v[104:105], v[6:7]
	s_delay_alu instid0(VALU_DEP_1) | instskip(SKIP_2) | instid1(VALU_DEP_1)
	v_add_f64 v[12:13], v[8:9], v[6:7]
	v_add_f64 v[8:9], v[26:27], v[34:35]
	v_mul_f64 v[6:7], v[10:11], s[18:19]
	v_fma_f64 v[14:15], v[8:9], s[14:15], -v[6:7]
	s_delay_alu instid0(VALU_DEP_1) | instskip(NEXT) | instid1(VALU_DEP_1)
	v_add_f64 v[14:15], v[106:107], v[14:15]
	v_add_f64 v[14:15], v[16:17], v[14:15]
	v_mul_f64 v[16:17], v[216:217], s[26:27]
	scratch_store_b64 off, v[16:17], off offset:540 ; 8-byte Folded Spill
	v_fma_f64 v[16:17], v[150:151], s[16:17], v[16:17]
	s_delay_alu instid0(VALU_DEP_1) | instskip(SKIP_3) | instid1(VALU_DEP_1)
	v_add_f64 v[12:13], v[16:17], v[12:13]
	v_mul_f64 v[16:17], v[172:173], s[26:27]
	scratch_store_b64 off, v[16:17], off offset:556 ; 8-byte Folded Spill
	v_fma_f64 v[16:17], v[166:167], s[16:17], -v[16:17]
	v_add_f64 v[14:15], v[16:17], v[14:15]
	v_mul_f64 v[16:17], v[218:219], s[24:25]
	scratch_store_b64 off, v[16:17], off offset:548 ; 8-byte Folded Spill
	v_fma_f64 v[16:17], v[162:163], s[20:21], v[16:17]
	s_delay_alu instid0(VALU_DEP_1) | instskip(SKIP_3) | instid1(VALU_DEP_1)
	v_add_f64 v[12:13], v[16:17], v[12:13]
	v_mul_f64 v[16:17], v[182:183], s[24:25]
	scratch_store_b64 off, v[16:17], off offset:564 ; 8-byte Folded Spill
	v_fma_f64 v[16:17], v[174:175], s[20:21], -v[16:17]
	v_add_f64 v[14:15], v[16:17], v[14:15]
	v_mul_f64 v[16:17], v[228:229], s[30:31]
	scratch_store_b64 off, v[16:17], off offset:572 ; 8-byte Folded Spill
	v_fma_f64 v[16:17], v[178:179], s[22:23], v[16:17]
	s_clause 0x3
	scratch_store_b64 off, v[28:29], off offset:388
	scratch_store_b64 off, v[32:33], off offset:420
	;; [unrolled: 1-line block ×4, first 2 shown]
	v_mul_f64 v[28:29], v[10:11], s[12:13]
	v_mul_f64 v[30:31], v[4:5], s[26:27]
	;; [unrolled: 1-line block ×3, first 2 shown]
	v_add_f64 v[12:13], v[16:17], v[12:13]
	v_mul_f64 v[16:17], v[214:215], s[30:31]
	scratch_store_b64 off, v[16:17], off offset:588 ; 8-byte Folded Spill
	v_fma_f64 v[16:17], v[192:193], s[22:23], -v[16:17]
	s_delay_alu instid0(VALU_DEP_1)
	v_add_f64 v[14:15], v[16:17], v[14:15]
	v_mul_f64 v[16:17], v[232:233], s[38:39]
	scratch_store_b64 off, v[16:17], off offset:580 ; 8-byte Folded Spill
	v_fma_f64 v[16:17], v[188:189], s[28:29], v[16:17]
	s_clause 0x1
	scratch_store_b64 off, v[36:37], off offset:436
	scratch_store_b64 off, v[58:59], off offset:468
	v_mul_f64 v[36:37], v[204:205], s[38:39]
	v_add_f64 v[12:13], v[16:17], v[12:13]
	v_mul_f64 v[16:17], v[224:225], s[38:39]
	scratch_store_b64 off, v[16:17], off offset:596 ; 8-byte Folded Spill
	v_fma_f64 v[16:17], v[196:197], s[28:29], -v[16:17]
	s_delay_alu instid0(VALU_DEP_1)
	v_add_f64 v[14:15], v[16:17], v[14:15]
	v_mul_f64 v[16:17], v[234:235], s[46:47]
	scratch_store_b64 off, v[16:17], off offset:604 ; 8-byte Folded Spill
	v_fma_f64 v[16:17], v[200:201], s[34:35], v[16:17]
	s_clause 0x1
	scratch_store_b64 off, v[144:145], off offset:484
	scratch_store_b64 off, v[20:21], off offset:516
	v_mul_f64 v[144:145], v[236:237], s[52:53]
	v_mul_f64 v[20:21], v[182:183], s[44:45]
	v_add_f64 v[12:13], v[16:17], v[12:13]
	v_mul_f64 v[16:17], v[226:227], s[46:47]
	scratch_store_b64 off, v[148:149], off offset:508 ; 8-byte Folded Spill
	v_mul_f64 v[148:149], v[216:217], s[42:43]
	scratch_store_b64 off, v[16:17], off offset:612 ; 8-byte Folded Spill
	v_fma_f64 v[16:17], v[206:207], s[34:35], -v[16:17]
	s_delay_alu instid0(VALU_DEP_1) | instskip(SKIP_3) | instid1(VALU_DEP_1)
	v_add_f64 v[14:15], v[16:17], v[14:15]
	v_mul_f64 v[16:17], v[236:237], s[50:51]
	scratch_store_b64 off, v[16:17], off offset:620 ; 8-byte Folded Spill
	v_fma_f64 v[16:17], v[210:211], s[36:37], v[16:17]
	v_add_f64 v[184:185], v[16:17], v[12:13]
	v_mul_f64 v[12:13], v[230:231], s[50:51]
	v_mul_f64 v[16:17], v[204:205], s[24:25]
	s_clause 0x1
	scratch_store_b64 off, v[12:13], off offset:636
	scratch_store_b64 off, v[16:17], off offset:652
	v_fma_f64 v[12:13], v[220:221], s[36:37], -v[12:13]
	v_fma_f64 v[16:17], v[126:127], s[20:21], v[16:17]
	s_waitcnt_vscnt null, 0x0
	s_barrier
	buffer_gl0_inv
	v_add_f64 v[186:187], v[12:13], v[14:15]
	v_mul_f64 v[14:15], v[4:5], s[12:13]
	s_delay_alu instid0(VALU_DEP_1) | instskip(NEXT) | instid1(VALU_DEP_1)
	v_fma_f64 v[12:13], v[2:3], s[10:11], v[14:15]
	v_add_f64 v[12:13], v[104:105], v[12:13]
	s_delay_alu instid0(VALU_DEP_1) | instskip(SKIP_1) | instid1(VALU_DEP_1)
	v_add_f64 v[12:13], v[16:17], v[12:13]
	v_fma_f64 v[16:17], v[8:9], s[10:11], -v[28:29]
	v_add_f64 v[16:17], v[106:107], v[16:17]
	s_delay_alu instid0(VALU_DEP_1) | instskip(SKIP_1) | instid1(VALU_DEP_1)
	v_add_f64 v[16:17], v[18:19], v[16:17]
	v_fma_f64 v[18:19], v[150:151], s[28:29], v[240:241]
	v_add_f64 v[12:13], v[18:19], v[12:13]
	v_fma_f64 v[18:19], v[166:167], s[28:29], -v[254:255]
	s_delay_alu instid0(VALU_DEP_1) | instskip(SKIP_1) | instid1(VALU_DEP_1)
	v_add_f64 v[16:17], v[18:19], v[16:17]
	v_fma_f64 v[18:19], v[162:163], s[36:37], v[246:247]
	v_add_f64 v[12:13], v[18:19], v[12:13]
	v_fma_f64 v[18:19], v[174:175], s[36:37], -v[160:161]
	;; [unrolled: 5-line block ×6, first 2 shown]
	v_fma_f64 v[18:19], v[146:147], s[28:29], -v[180:181]
	s_delay_alu instid0(VALU_DEP_2) | instskip(SKIP_2) | instid1(VALU_DEP_2)
	v_add_f64 v[158:159], v[12:13], v[16:17]
	v_fma_f64 v[12:13], v[2:3], s[16:17], v[30:31]
	v_fma_f64 v[16:17], v[126:127], s[28:29], v[36:37]
	v_add_f64 v[12:13], v[104:105], v[12:13]
	s_delay_alu instid0(VALU_DEP_1) | instskip(SKIP_1) | instid1(VALU_DEP_1)
	v_add_f64 v[12:13], v[16:17], v[12:13]
	v_fma_f64 v[16:17], v[8:9], s[16:17], -v[32:33]
	v_add_f64 v[16:17], v[106:107], v[16:17]
	s_delay_alu instid0(VALU_DEP_1) | instskip(SKIP_1) | instid1(VALU_DEP_1)
	v_add_f64 v[16:17], v[18:19], v[16:17]
	v_fma_f64 v[18:19], v[150:151], s[36:37], v[148:149]
	v_add_f64 v[12:13], v[18:19], v[12:13]
	v_fma_f64 v[18:19], v[166:167], s[36:37], -v[202:203]
	s_delay_alu instid0(VALU_DEP_1) | instskip(SKIP_1) | instid1(VALU_DEP_1)
	v_add_f64 v[16:17], v[18:19], v[16:17]
	v_fma_f64 v[18:19], v[162:163], s[22:23], v[164:165]
	v_add_f64 v[12:13], v[18:19], v[12:13]
	v_fma_f64 v[18:19], v[174:175], s[22:23], -v[20:21]
	s_delay_alu instid0(VALU_DEP_1) | instskip(SKIP_1) | instid1(VALU_DEP_1)
	v_add_f64 v[16:17], v[18:19], v[16:17]
	v_fma_f64 v[18:19], v[178:179], s[10:11], v[208:209]
	v_add_f64 v[18:19], v[18:19], v[12:13]
	v_mul_f64 v[12:13], v[214:215], s[54:55]
	s_delay_alu instid0(VALU_DEP_1) | instskip(NEXT) | instid1(VALU_DEP_1)
	v_fma_f64 v[24:25], v[192:193], s[10:11], -v[12:13]
	v_add_f64 v[16:17], v[24:25], v[16:17]
	v_fma_f64 v[24:25], v[188:189], s[14:15], v[212:213]
	s_delay_alu instid0(VALU_DEP_1) | instskip(SKIP_1) | instid1(VALU_DEP_1)
	v_add_f64 v[18:19], v[24:25], v[18:19]
	v_mul_f64 v[24:25], v[224:225], s[18:19]
	v_fma_f64 v[56:57], v[196:197], s[14:15], -v[24:25]
	s_delay_alu instid0(VALU_DEP_1) | instskip(SKIP_1) | instid1(VALU_DEP_1)
	v_add_f64 v[56:57], v[56:57], v[16:17]
	v_fma_f64 v[16:17], v[200:201], s[20:21], v[198:199]
	v_add_f64 v[18:19], v[16:17], v[18:19]
	v_mul_f64 v[16:17], v[226:227], s[24:25]
	s_delay_alu instid0(VALU_DEP_1) | instskip(NEXT) | instid1(VALU_DEP_1)
	v_fma_f64 v[58:59], v[206:207], s[20:21], -v[16:17]
	v_add_f64 v[56:57], v[58:59], v[56:57]
	v_fma_f64 v[58:59], v[210:211], s[34:35], v[176:177]
	s_delay_alu instid0(VALU_DEP_1) | instskip(SKIP_1) | instid1(VALU_DEP_1)
	v_add_f64 v[152:153], v[58:59], v[18:19]
	v_mul_f64 v[18:19], v[230:231], s[46:47]
	v_fma_f64 v[58:59], v[220:221], s[34:35], -v[18:19]
	s_delay_alu instid0(VALU_DEP_1)
	v_add_f64 v[154:155], v[58:59], v[56:57]
	s_and_saveexec_b32 s1, s0
	s_cbranch_execz .LBB0_11
; %bb.10:
	v_mul_f64 v[56:57], v[8:9], s[36:37]
	s_clause 0x1
	scratch_store_b64 off, v[60:61], off offset:676
	scratch_store_b64 off, v[66:67], off offset:692
	v_mul_f64 v[60:61], v[8:9], s[34:35]
	scratch_store_b64 off, v[64:65], off offset:700 ; 8-byte Folded Spill
	v_mul_f64 v[64:65], v[8:9], s[28:29]
	s_clause 0x3
	scratch_store_b64 off, v[68:69], off offset:708
	scratch_store_b64 off, v[70:71], off offset:716
	;; [unrolled: 1-line block ×4, first 2 shown]
	v_mul_f64 v[68:69], v[8:9], s[22:23]
	v_mul_f64 v[44:45], v[8:9], s[20:21]
	s_mov_b32 s57, 0x3fe9895b
	s_mov_b32 s56, s38
	;; [unrolled: 1-line block ×4, first 2 shown]
	s_clause 0x4
	scratch_store_b64 off, v[62:63], off offset:660
	scratch_store_b64 off, v[48:49], off offset:740
	;; [unrolled: 1-line block ×5, first 2 shown]
	v_mul_f64 v[48:49], v[4:5], s[38:39]
	s_clause 0x2
	scratch_store_b64 off, v[50:51], off offset:796
	scratch_store_b64 off, v[132:133], off offset:780
	;; [unrolled: 1-line block ×3, first 2 shown]
	v_dual_mov_b32 v132, v140 :: v_dual_mov_b32 v133, v141
	v_mul_f64 v[50:51], v[4:5], s[30:31]
	v_dual_mov_b32 v134, v142 :: v_dual_mov_b32 v135, v143
	v_fma_f64 v[58:59], v[10:11], s[42:43], v[56:57]
	v_fma_f64 v[56:57], v[10:11], s[50:51], v[56:57]
	v_fma_f64 v[62:63], v[10:11], s[40:41], v[60:61]
	v_fma_f64 v[60:61], v[10:11], s[46:47], v[60:61]
	v_fma_f64 v[66:67], v[10:11], s[56:57], v[64:65]
	v_fma_f64 v[64:65], v[10:11], s[38:39], v[64:65]
	v_fma_f64 v[70:71], v[10:11], s[44:45], v[68:69]
	v_fma_f64 v[68:69], v[10:11], s[30:31], v[68:69]
	v_fma_f64 v[46:47], v[10:11], s[58:59], v[44:45]
	v_fma_f64 v[44:45], v[10:11], s[24:25], v[44:45]
	v_mul_f64 v[10:11], v[8:9], s[16:17]
	v_fma_f64 v[140:141], v[2:3], s[28:29], v[48:49]
	v_fma_f64 v[48:49], v[2:3], s[28:29], -v[48:49]
	v_add_f64 v[46:47], v[106:107], v[46:47]
	v_add_f64 v[44:45], v[106:107], v[44:45]
	v_add_f64 v[32:33], v[32:33], v[10:11]
	v_mul_f64 v[10:11], v[2:3], s[16:17]
	v_add_f64 v[48:49], v[104:105], v[48:49]
	s_clause 0x1
	scratch_store_b64 off, v[46:47], off offset:828
	scratch_store_b64 off, v[44:45], off offset:892
	v_add_f64 v[44:45], v[106:107], v[32:33]
	v_add_f64 v[30:31], v[10:11], -v[30:31]
	v_mul_f64 v[10:11], v[8:9], s[10:11]
	v_mul_f64 v[8:9], v[8:9], s[14:15]
	scratch_store_b64 off, v[48:49], off offset:868 ; 8-byte Folded Spill
	v_add_f64 v[48:49], v[106:107], v[70:71]
	v_add_f64 v[28:29], v[28:29], v[10:11]
	v_mul_f64 v[10:11], v[2:3], s[10:11]
	v_add_f64 v[6:7], v[6:7], v[8:9]
	v_mul_f64 v[8:9], v[4:5], s[50:51]
	s_delay_alu instid0(VALU_DEP_4) | instskip(NEXT) | instid1(VALU_DEP_4)
	v_add_f64 v[28:29], v[106:107], v[28:29]
	v_add_f64 v[14:15], v[10:11], -v[14:15]
	v_mul_f64 v[10:11], v[4:5], s[46:47]
	v_mul_f64 v[4:5], v[4:5], s[24:25]
	v_fma_f64 v[34:35], v[2:3], s[36:37], v[8:9]
	v_fma_f64 v[8:9], v[2:3], s[36:37], -v[8:9]
	v_add_f64 v[14:15], v[104:105], v[14:15]
	v_fma_f64 v[136:137], v[2:3], s[34:35], v[10:11]
	v_fma_f64 v[142:143], v[2:3], s[20:21], v[4:5]
	v_fma_f64 v[138:139], v[2:3], s[34:35], -v[10:11]
	v_fma_f64 v[4:5], v[2:3], s[20:21], -v[4:5]
	v_add_f64 v[34:35], v[104:105], v[34:35]
	v_add_f64 v[10:11], v[106:107], v[62:63]
	;; [unrolled: 1-line block ×3, first 2 shown]
	scratch_store_b64 off, v[238:239], off offset:756 ; 8-byte Folded Spill
	v_fma_f64 v[238:239], v[2:3], s[22:23], v[50:51]
	v_fma_f64 v[50:51], v[2:3], s[22:23], -v[50:51]
	v_mul_f64 v[2:3], v[2:3], s[14:15]
	scratch_store_b64 off, v[48:49], off offset:844 ; 8-byte Folded Spill
	v_add_f64 v[142:143], v[104:105], v[4:5]
	v_mul_f64 v[4:5], v[146:147], s[14:15]
	scratch_store_b64 off, v[46:47], off offset:820 ; 8-byte Folded Spill
	v_add_f64 v[46:47], v[104:105], v[30:31]
	v_add_f64 v[48:49], v[104:105], v[238:239]
	v_mul_f64 v[30:31], v[166:167], s[34:35]
	v_add_f64 v[0:1], v[2:3], -v[0:1]
	v_add_f64 v[2:3], v[106:107], v[26:27]
	v_add_f64 v[26:27], v[106:107], v[56:57]
	v_add_f64 v[56:57], v[106:107], v[60:61]
	v_add_f64 v[60:61], v[106:107], v[66:67]
	scratch_store_b64 off, v[48:49], off offset:836 ; 8-byte Folded Spill
	v_add_f64 v[48:49], v[106:107], v[68:69]
	v_fma_f64 v[32:33], v[172:173], s[40:41], v[30:31]
	scratch_store_b64 off, v[2:3], off offset:804 ; 8-byte Folded Spill
	v_add_f64 v[2:3], v[104:105], v[22:23]
	v_add_f64 v[22:23], v[104:105], v[8:9]
	;; [unrolled: 1-line block ×3, first 2 shown]
	scratch_store_b64 off, v[60:61], off offset:860 ; 8-byte Folded Spill
	v_add_f64 v[60:61], v[104:105], v[140:141]
	v_add_f64 v[140:141], v[104:105], v[50:51]
	v_mul_f64 v[136:137], v[220:221], s[20:21]
	s_clause 0x1
	scratch_store_b64 off, v[48:49], off offset:884
	scratch_store_b64 off, v[2:3], off offset:812
	v_add_f64 v[2:3], v[106:107], v[58:59]
	v_add_f64 v[58:59], v[104:105], v[138:139]
	;; [unrolled: 1-line block ×3, first 2 shown]
	scratch_store_b64 off, v[60:61], off offset:852 ; 8-byte Folded Spill
	v_fma_f64 v[0:1], v[170:171], s[18:19], v[4:5]
	v_add_f64 v[60:61], v[106:107], v[64:65]
	v_add_f64 v[106:107], v[106:107], v[6:7]
	v_mul_f64 v[6:7], v[204:205], s[52:53]
	v_fma_f64 v[4:5], v[170:171], s[52:53], v[4:5]
	v_mul_f64 v[138:139], v[236:237], s[58:59]
	v_add_f64 v[0:1], v[0:1], v[2:3]
	scratch_store_b64 off, v[60:61], off offset:876 ; 8-byte Folded Spill
	v_fma_f64 v[2:3], v[126:127], s[14:15], v[6:7]
	v_fma_f64 v[6:7], v[126:127], s[14:15], -v[6:7]
	v_add_f64 v[4:5], v[4:5], v[26:27]
	v_fma_f64 v[26:27], v[210:211], s[20:21], -v[138:139]
	v_add_f64 v[0:1], v[32:33], v[0:1]
	v_mul_f64 v[32:33], v[216:217], s[46:47]
	v_add_f64 v[2:3], v[2:3], v[34:35]
	v_add_f64 v[6:7], v[6:7], v[22:23]
	v_fma_f64 v[22:23], v[172:173], s[46:47], v[30:31]
	s_delay_alu instid0(VALU_DEP_4) | instskip(NEXT) | instid1(VALU_DEP_2)
	v_fma_f64 v[34:35], v[150:151], s[34:35], v[32:33]
	v_add_f64 v[4:5], v[22:23], v[4:5]
	v_fma_f64 v[22:23], v[150:151], s[34:35], -v[32:33]
	s_delay_alu instid0(VALU_DEP_3) | instskip(SKIP_1) | instid1(VALU_DEP_3)
	v_add_f64 v[2:3], v[34:35], v[2:3]
	v_mul_f64 v[34:35], v[174:175], s[10:11]
	v_add_f64 v[6:7], v[22:23], v[6:7]
	s_delay_alu instid0(VALU_DEP_2) | instskip(SKIP_1) | instid1(VALU_DEP_2)
	v_fma_f64 v[48:49], v[182:183], s[12:13], v[34:35]
	v_fma_f64 v[22:23], v[182:183], s[54:55], v[34:35]
	v_add_f64 v[0:1], v[48:49], v[0:1]
	v_mul_f64 v[48:49], v[218:219], s[54:55]
	s_delay_alu instid0(VALU_DEP_3) | instskip(NEXT) | instid1(VALU_DEP_2)
	v_add_f64 v[4:5], v[22:23], v[4:5]
	v_fma_f64 v[50:51], v[162:163], s[10:11], v[48:49]
	v_fma_f64 v[22:23], v[162:163], s[10:11], -v[48:49]
	s_delay_alu instid0(VALU_DEP_2) | instskip(SKIP_1) | instid1(VALU_DEP_3)
	v_add_f64 v[2:3], v[50:51], v[2:3]
	v_mul_f64 v[50:51], v[192:193], s[28:29]
	v_add_f64 v[6:7], v[22:23], v[6:7]
	s_delay_alu instid0(VALU_DEP_2) | instskip(SKIP_1) | instid1(VALU_DEP_2)
	v_fma_f64 v[60:61], v[214:215], s[56:57], v[50:51]
	v_fma_f64 v[22:23], v[214:215], s[38:39], v[50:51]
	v_add_f64 v[0:1], v[60:61], v[0:1]
	v_mul_f64 v[60:61], v[228:229], s[38:39]
	s_delay_alu instid0(VALU_DEP_3) | instskip(NEXT) | instid1(VALU_DEP_2)
	v_add_f64 v[4:5], v[22:23], v[4:5]
	v_fma_f64 v[62:63], v[178:179], s[28:29], v[60:61]
	v_fma_f64 v[22:23], v[178:179], s[28:29], -v[60:61]
	s_delay_alu instid0(VALU_DEP_2) | instskip(SKIP_1) | instid1(VALU_DEP_3)
	;; [unrolled: 13-line block ×3, first 2 shown]
	v_add_f64 v[2:3], v[66:67], v[2:3]
	v_mul_f64 v[66:67], v[206:207], s[22:23]
	v_add_f64 v[6:7], v[22:23], v[6:7]
	s_delay_alu instid0(VALU_DEP_2) | instskip(SKIP_1) | instid1(VALU_DEP_2)
	v_fma_f64 v[68:69], v[226:227], s[44:45], v[66:67]
	v_fma_f64 v[22:23], v[226:227], s[30:31], v[66:67]
	v_add_f64 v[0:1], v[68:69], v[0:1]
	v_mul_f64 v[68:69], v[234:235], s[30:31]
	s_delay_alu instid0(VALU_DEP_3) | instskip(NEXT) | instid1(VALU_DEP_2)
	v_add_f64 v[4:5], v[22:23], v[4:5]
	v_fma_f64 v[22:23], v[200:201], s[22:23], -v[68:69]
	v_fma_f64 v[70:71], v[200:201], s[22:23], v[68:69]
	s_delay_alu instid0(VALU_DEP_2) | instskip(SKIP_1) | instid1(VALU_DEP_3)
	v_add_f64 v[22:23], v[22:23], v[6:7]
	v_fma_f64 v[6:7], v[230:231], s[58:59], v[136:137]
	v_add_f64 v[70:71], v[70:71], v[2:3]
	v_fma_f64 v[2:3], v[230:231], s[24:25], v[136:137]
	s_delay_alu instid0(VALU_DEP_3) | instskip(SKIP_2) | instid1(VALU_DEP_4)
	v_add_f64 v[6:7], v[6:7], v[4:5]
	v_add_f64 v[4:5], v[26:27], v[22:23]
	v_mul_f64 v[22:23], v[146:147], s[16:17]
	v_add_f64 v[2:3], v[2:3], v[0:1]
	v_fma_f64 v[0:1], v[210:211], s[20:21], v[138:139]
	s_delay_alu instid0(VALU_DEP_3) | instskip(SKIP_1) | instid1(VALU_DEP_3)
	v_fma_f64 v[26:27], v[170:171], s[26:27], v[22:23]
	v_fma_f64 v[22:23], v[170:171], s[48:49], v[22:23]
	v_add_f64 v[0:1], v[0:1], v[70:71]
	s_delay_alu instid0(VALU_DEP_3) | instskip(SKIP_1) | instid1(VALU_DEP_4)
	v_add_f64 v[10:11], v[26:27], v[10:11]
	v_mul_f64 v[26:27], v[204:205], s[48:49]
	v_add_f64 v[22:23], v[22:23], v[56:57]
	v_mul_f64 v[56:57], v[162:163], s[36:37]
	s_delay_alu instid0(VALU_DEP_3) | instskip(SKIP_1) | instid1(VALU_DEP_3)
	v_fma_f64 v[30:31], v[126:127], s[16:17], v[26:27]
	v_fma_f64 v[26:27], v[126:127], s[16:17], -v[26:27]
	v_add_f64 v[56:57], v[56:57], -v[246:247]
	s_delay_alu instid0(VALU_DEP_3) | instskip(SKIP_1) | instid1(VALU_DEP_4)
	v_add_f64 v[8:9], v[30:31], v[8:9]
	v_mul_f64 v[30:31], v[166:167], s[20:21]
	v_add_f64 v[26:27], v[26:27], v[58:59]
	v_mul_f64 v[58:59], v[192:193], s[34:35]
	s_delay_alu instid0(VALU_DEP_3) | instskip(SKIP_1) | instid1(VALU_DEP_3)
	v_fma_f64 v[32:33], v[172:173], s[58:59], v[30:31]
	v_fma_f64 v[30:31], v[172:173], s[24:25], v[30:31]
	v_add_f64 v[58:59], v[168:169], v[58:59]
	v_mul_f64 v[168:169], v[232:233], s[58:59]
	s_delay_alu instid0(VALU_DEP_4) | instskip(SKIP_2) | instid1(VALU_DEP_2)
	v_add_f64 v[10:11], v[32:33], v[10:11]
	v_mul_f64 v[32:33], v[216:217], s[24:25]
	v_add_f64 v[22:23], v[30:31], v[22:23]
	v_fma_f64 v[34:35], v[150:151], s[20:21], v[32:33]
	v_fma_f64 v[30:31], v[150:151], s[20:21], -v[32:33]
	s_delay_alu instid0(VALU_DEP_2) | instskip(SKIP_1) | instid1(VALU_DEP_3)
	v_add_f64 v[8:9], v[34:35], v[8:9]
	v_mul_f64 v[34:35], v[174:175], s[28:29]
	v_add_f64 v[26:27], v[30:31], v[26:27]
	s_delay_alu instid0(VALU_DEP_2) | instskip(SKIP_1) | instid1(VALU_DEP_2)
	v_fma_f64 v[48:49], v[182:183], s[38:39], v[34:35]
	v_fma_f64 v[30:31], v[182:183], s[56:57], v[34:35]
	v_add_f64 v[10:11], v[48:49], v[10:11]
	v_mul_f64 v[48:49], v[218:219], s[56:57]
	s_delay_alu instid0(VALU_DEP_3) | instskip(NEXT) | instid1(VALU_DEP_2)
	v_add_f64 v[22:23], v[30:31], v[22:23]
	v_fma_f64 v[50:51], v[162:163], s[28:29], v[48:49]
	v_fma_f64 v[30:31], v[162:163], s[28:29], -v[48:49]
	v_mul_f64 v[48:49], v[150:151], s[28:29]
	s_delay_alu instid0(VALU_DEP_3) | instskip(SKIP_1) | instid1(VALU_DEP_4)
	v_add_f64 v[8:9], v[50:51], v[8:9]
	v_mul_f64 v[50:51], v[192:193], s[14:15]
	v_add_f64 v[26:27], v[30:31], v[26:27]
	s_delay_alu instid0(VALU_DEP_4) | instskip(NEXT) | instid1(VALU_DEP_3)
	v_add_f64 v[48:49], v[48:49], -v[240:241]
	v_fma_f64 v[60:61], v[214:215], s[52:53], v[50:51]
	v_fma_f64 v[30:31], v[214:215], s[18:19], v[50:51]
	v_mul_f64 v[50:51], v[174:175], s[36:37]
	s_delay_alu instid0(VALU_DEP_3) | instskip(SKIP_1) | instid1(VALU_DEP_4)
	v_add_f64 v[10:11], v[60:61], v[10:11]
	v_mul_f64 v[60:61], v[228:229], s[18:19]
	v_add_f64 v[22:23], v[30:31], v[22:23]
	s_delay_alu instid0(VALU_DEP_4) | instskip(SKIP_1) | instid1(VALU_DEP_4)
	v_add_f64 v[50:51], v[160:161], v[50:51]
	v_mul_f64 v[160:161], v[228:229], s[50:51]
	v_fma_f64 v[62:63], v[178:179], s[14:15], v[60:61]
	v_fma_f64 v[30:31], v[178:179], s[14:15], -v[60:61]
	v_mul_f64 v[60:61], v[178:179], s[34:35]
	s_delay_alu instid0(VALU_DEP_3) | instskip(SKIP_1) | instid1(VALU_DEP_4)
	v_add_f64 v[8:9], v[62:63], v[8:9]
	v_mul_f64 v[62:63], v[196:197], s[36:37]
	v_add_f64 v[26:27], v[30:31], v[26:27]
	s_delay_alu instid0(VALU_DEP_4) | instskip(SKIP_1) | instid1(VALU_DEP_4)
	v_add_f64 v[60:61], v[60:61], -v[248:249]
	v_mul_f64 v[248:249], v[220:221], s[16:17]
	v_fma_f64 v[64:65], v[224:225], s[42:43], v[62:63]
	v_fma_f64 v[30:31], v[224:225], s[50:51], v[62:63]
	v_mul_f64 v[62:63], v[196:197], s[22:23]
	s_delay_alu instid0(VALU_DEP_3) | instskip(SKIP_1) | instid1(VALU_DEP_4)
	v_add_f64 v[10:11], v[64:65], v[10:11]
	v_mul_f64 v[64:65], v[232:233], s[50:51]
	v_add_f64 v[22:23], v[30:31], v[22:23]
	s_delay_alu instid0(VALU_DEP_4) | instskip(SKIP_1) | instid1(VALU_DEP_4)
	v_add_f64 v[62:63], v[190:191], v[62:63]
	v_mul_f64 v[190:191], v[220:221], s[28:29]
	v_fma_f64 v[66:67], v[188:189], s[36:37], v[64:65]
	v_fma_f64 v[30:31], v[188:189], s[36:37], -v[64:65]
	v_mul_f64 v[64:65], v[234:235], s[56:57]
	s_delay_alu instid0(VALU_DEP_3) | instskip(SKIP_1) | instid1(VALU_DEP_4)
	v_add_f64 v[8:9], v[66:67], v[8:9]
	v_mul_f64 v[66:67], v[206:207], s[10:11]
	v_add_f64 v[26:27], v[30:31], v[26:27]
	s_delay_alu instid0(VALU_DEP_2) | instskip(SKIP_2) | instid1(VALU_DEP_3)
	v_fma_f64 v[68:69], v[226:227], s[12:13], v[66:67]
	v_fma_f64 v[30:31], v[226:227], s[54:55], v[66:67]
	v_mul_f64 v[66:67], v[220:221], s[10:11]
	v_add_f64 v[10:11], v[68:69], v[10:11]
	v_mul_f64 v[68:69], v[234:235], s[54:55]
	s_delay_alu instid0(VALU_DEP_4) | instskip(NEXT) | instid1(VALU_DEP_2)
	v_add_f64 v[22:23], v[30:31], v[22:23]
	v_fma_f64 v[70:71], v[200:201], s[10:11], v[68:69]
	v_fma_f64 v[30:31], v[200:201], s[10:11], -v[68:69]
	v_mul_f64 v[68:69], v[236:237], s[54:55]
	s_delay_alu instid0(VALU_DEP_3) | instskip(SKIP_1) | instid1(VALU_DEP_4)
	v_add_f64 v[8:9], v[70:71], v[8:9]
	v_mul_f64 v[70:71], v[220:221], s[22:23]
	v_add_f64 v[26:27], v[30:31], v[26:27]
	s_delay_alu instid0(VALU_DEP_2) | instskip(SKIP_2) | instid1(VALU_DEP_3)
	v_fma_f64 v[136:137], v[230:231], s[44:45], v[70:71]
	v_fma_f64 v[30:31], v[230:231], s[30:31], v[70:71]
	v_mul_f64 v[70:71], v[146:147], s[34:35]
	v_add_f64 v[10:11], v[136:137], v[10:11]
	v_mul_f64 v[136:137], v[236:237], s[30:31]
	s_delay_alu instid0(VALU_DEP_4) | instskip(SKIP_1) | instid1(VALU_DEP_3)
	v_add_f64 v[32:33], v[30:31], v[22:23]
	v_mul_f64 v[22:23], v[146:147], s[20:21]
	v_fma_f64 v[34:35], v[210:211], s[22:23], -v[136:137]
	v_fma_f64 v[138:139], v[210:211], s[22:23], v[136:137]
	s_delay_alu instid0(VALU_DEP_3) | instskip(SKIP_1) | instid1(VALU_DEP_4)
	v_add_f64 v[22:23], v[242:243], v[22:23]
	v_mul_f64 v[136:137], v[204:205], s[40:41]
	v_add_f64 v[30:31], v[34:35], v[26:27]
	scratch_load_b64 v[34:35], off, off offset:652 ; 8-byte Folded Reload
	v_mul_f64 v[26:27], v[126:127], s[20:21]
	v_add_f64 v[22:23], v[22:23], v[28:29]
	v_mul_f64 v[28:29], v[206:207], s[16:17]
	v_add_f64 v[8:9], v[138:139], v[8:9]
	v_mul_f64 v[138:139], v[166:167], s[10:11]
	s_delay_alu instid0(VALU_DEP_3)
	v_add_f64 v[28:29], v[194:195], v[28:29]
	v_mul_f64 v[194:195], v[236:237], s[38:39]
	v_mul_f64 v[236:237], v[236:237], s[48:49]
	s_waitcnt vmcnt(0)
	v_add_f64 v[26:27], v[26:27], -v[34:35]
	v_mul_f64 v[34:35], v[166:167], s[28:29]
	s_delay_alu instid0(VALU_DEP_2) | instskip(NEXT) | instid1(VALU_DEP_2)
	v_add_f64 v[14:15], v[26:27], v[14:15]
	v_add_f64 v[34:35], v[254:255], v[34:35]
	v_mul_f64 v[26:27], v[188:189], s[22:23]
	s_delay_alu instid0(VALU_DEP_3) | instskip(NEXT) | instid1(VALU_DEP_3)
	v_add_f64 v[14:15], v[48:49], v[14:15]
	v_add_f64 v[22:23], v[34:35], v[22:23]
	s_delay_alu instid0(VALU_DEP_3)
	v_add_f64 v[26:27], v[26:27], -v[250:251]
	v_mul_f64 v[34:35], v[200:201], s[16:17]
	v_mul_f64 v[48:49], v[220:221], s[14:15]
	v_add_f64 v[14:15], v[56:57], v[14:15]
	v_add_f64 v[22:23], v[50:51], v[22:23]
	v_mul_f64 v[50:51], v[192:193], s[16:17]
	v_add_f64 v[34:35], v[34:35], -v[252:253]
	v_add_f64 v[48:49], v[222:223], v[48:49]
	v_mul_f64 v[56:57], v[228:229], s[26:27]
	v_add_f64 v[14:15], v[60:61], v[14:15]
	v_add_f64 v[22:23], v[58:59], v[22:23]
	v_mul_f64 v[58:59], v[196:197], s[34:35]
	v_mul_f64 v[60:61], v[232:233], s[46:47]
	v_mul_f64 v[232:233], v[232:233], s[12:13]
	v_add_f64 v[14:15], v[26:27], v[14:15]
	v_mul_f64 v[26:27], v[210:211], s[14:15]
	v_add_f64 v[22:23], v[62:63], v[22:23]
	v_mul_f64 v[62:63], v[206:207], s[28:29]
	s_delay_alu instid0(VALU_DEP_4) | instskip(NEXT) | instid1(VALU_DEP_4)
	v_add_f64 v[14:15], v[34:35], v[14:15]
	v_add_f64 v[26:27], v[26:27], -v[144:145]
	s_delay_alu instid0(VALU_DEP_4)
	v_add_f64 v[22:23], v[28:29], v[22:23]
	v_mul_f64 v[28:29], v[150:151], s[36:37]
	v_mul_f64 v[34:35], v[174:175], s[22:23]
	;; [unrolled: 1-line block ×3, first 2 shown]
	v_add_f64 v[238:239], v[26:27], v[14:15]
	v_mul_f64 v[14:15], v[146:147], s[28:29]
	v_add_f64 v[240:241], v[48:49], v[22:23]
	v_mul_f64 v[22:23], v[126:127], s[28:29]
	v_mul_f64 v[26:27], v[166:167], s[36:37]
	v_add_f64 v[28:29], v[28:29], -v[148:149]
	v_add_f64 v[20:21], v[20:21], v[34:35]
	v_mul_f64 v[34:35], v[162:163], s[22:23]
	v_mul_f64 v[48:49], v[196:197], s[14:15]
	;; [unrolled: 1-line block ×3, first 2 shown]
	v_add_f64 v[14:15], v[180:181], v[14:15]
	v_mul_f64 v[180:181], v[234:235], s[18:19]
	v_add_f64 v[22:23], v[22:23], -v[36:37]
	v_add_f64 v[26:27], v[202:203], v[26:27]
	v_mul_f64 v[36:37], v[192:193], s[10:11]
	v_mul_f64 v[202:203], v[204:205], s[44:45]
	v_add_f64 v[34:35], v[34:35], -v[164:165]
	v_add_f64 v[24:25], v[24:25], v[48:49]
	v_mul_f64 v[48:49], v[218:219], s[52:53]
	v_mul_f64 v[164:165], v[196:197], s[20:21]
	v_mul_f64 v[234:235], v[234:235], s[50:51]
	v_add_f64 v[14:15], v[14:15], v[44:45]
	v_mul_f64 v[44:45], v[188:189], s[14:15]
	v_add_f64 v[22:23], v[22:23], v[46:47]
	v_mul_f64 v[46:47], v[174:175], s[14:15]
	v_add_f64 v[12:13], v[12:13], v[36:37]
	v_mul_f64 v[36:37], v[178:179], s[10:11]
	v_add_f64 v[14:15], v[26:27], v[14:15]
	v_mul_f64 v[26:27], v[206:207], s[20:21]
	v_add_f64 v[22:23], v[28:29], v[22:23]
	v_add_f64 v[44:45], v[44:45], -v[212:213]
	v_mul_f64 v[28:29], v[146:147], s[36:37]
	v_add_f64 v[36:37], v[36:37], -v[208:209]
	v_add_f64 v[14:15], v[20:21], v[14:15]
	v_add_f64 v[16:17], v[16:17], v[26:27]
	;; [unrolled: 1-line block ×3, first 2 shown]
	v_mul_f64 v[22:23], v[200:201], s[20:21]
	v_mul_f64 v[34:35], v[204:205], s[50:51]
	s_clause 0x1
	scratch_load_b64 v[26:27], off, off offset:876
	scratch_load_b64 v[204:205], off, off offset:868
	v_add_f64 v[12:13], v[12:13], v[14:15]
	v_add_f64 v[14:15], v[36:37], v[20:21]
	v_mul_f64 v[20:21], v[220:221], s[34:35]
	v_add_f64 v[22:23], v[22:23], -v[198:199]
	v_mul_f64 v[36:37], v[166:167], s[22:23]
	v_mul_f64 v[198:199], v[146:147], s[22:23]
	v_add_f64 v[12:13], v[24:25], v[12:13]
	v_fma_f64 v[24:25], v[172:173], s[54:55], v[138:139]
	v_add_f64 v[14:15], v[44:45], v[14:15]
	v_add_f64 v[18:19], v[18:19], v[20:21]
	v_mul_f64 v[20:21], v[210:211], s[34:35]
	v_mul_f64 v[44:45], v[216:217], s[44:45]
	v_fma_f64 v[138:139], v[172:173], s[12:13], v[138:139]
	v_add_f64 v[12:13], v[16:17], v[12:13]
	v_add_f64 v[16:17], v[22:23], v[14:15]
	scratch_load_b64 v[22:23], off, off offset:884 ; 8-byte Folded Reload
	v_add_f64 v[20:21], v[20:21], -v[176:177]
	v_mul_f64 v[176:177], v[206:207], s[14:15]
	v_add_f64 v[14:15], v[18:19], v[12:13]
	scratch_load_b64 v[18:19], off, off offset:892 ; 8-byte Folded Reload
	v_add_f64 v[12:13], v[20:21], v[16:17]
	v_fma_f64 v[16:17], v[170:171], s[50:51], v[28:29]
	v_fma_f64 v[20:21], v[172:173], s[44:45], v[36:37]
	;; [unrolled: 1-line block ×4, first 2 shown]
	s_waitcnt vmcnt(0)
	s_delay_alu instid0(VALU_DEP_4) | instskip(SKIP_2) | instid1(VALU_DEP_3)
	v_add_f64 v[16:17], v[16:17], v[18:19]
	v_fma_f64 v[18:19], v[126:127], s[36:37], -v[34:35]
	v_fma_f64 v[34:35], v[126:127], s[36:37], v[34:35]
	v_add_f64 v[16:17], v[20:21], v[16:17]
	s_delay_alu instid0(VALU_DEP_3) | instskip(SKIP_2) | instid1(VALU_DEP_2)
	v_add_f64 v[18:19], v[18:19], v[142:143]
	v_fma_f64 v[20:21], v[150:151], s[22:23], -v[44:45]
	v_mul_f64 v[142:143], v[216:217], s[54:55]
	v_add_f64 v[18:19], v[20:21], v[18:19]
	v_fma_f64 v[20:21], v[182:183], s[52:53], v[46:47]
	s_delay_alu instid0(VALU_DEP_1) | instskip(SKIP_1) | instid1(VALU_DEP_1)
	v_add_f64 v[16:17], v[20:21], v[16:17]
	v_fma_f64 v[20:21], v[162:163], s[14:15], -v[48:49]
	v_add_f64 v[18:19], v[20:21], v[18:19]
	v_fma_f64 v[20:21], v[214:215], s[26:27], v[50:51]
	s_delay_alu instid0(VALU_DEP_1) | instskip(SKIP_1) | instid1(VALU_DEP_1)
	v_add_f64 v[16:17], v[20:21], v[16:17]
	v_fma_f64 v[20:21], v[178:179], s[16:17], -v[56:57]
	;; [unrolled: 5-line block ×5, first 2 shown]
	v_add_f64 v[16:17], v[16:17], v[20:21]
	v_fma_f64 v[20:21], v[170:171], s[40:41], v[70:71]
	v_fma_f64 v[70:71], v[170:171], s[46:47], v[70:71]
	s_delay_alu instid0(VALU_DEP_2) | instskip(SKIP_2) | instid1(VALU_DEP_3)
	v_add_f64 v[20:21], v[20:21], v[22:23]
	v_fma_f64 v[22:23], v[126:127], s[34:35], -v[136:137]
	v_fma_f64 v[136:137], v[126:127], s[34:35], v[136:137]
	v_add_f64 v[20:21], v[24:25], v[20:21]
	s_delay_alu instid0(VALU_DEP_3) | instskip(SKIP_1) | instid1(VALU_DEP_1)
	v_add_f64 v[22:23], v[22:23], v[140:141]
	v_mul_f64 v[140:141], v[174:175], s[16:17]
	v_fma_f64 v[24:25], v[182:183], s[26:27], v[140:141]
	s_delay_alu instid0(VALU_DEP_1) | instskip(SKIP_1) | instid1(VALU_DEP_1)
	v_add_f64 v[20:21], v[24:25], v[20:21]
	v_fma_f64 v[24:25], v[150:151], s[10:11], -v[142:143]
	v_add_f64 v[22:23], v[24:25], v[22:23]
	v_fma_f64 v[24:25], v[162:163], s[16:17], -v[144:145]
	s_delay_alu instid0(VALU_DEP_1) | instskip(SKIP_1) | instid1(VALU_DEP_1)
	v_add_f64 v[22:23], v[24:25], v[22:23]
	v_fma_f64 v[24:25], v[214:215], s[50:51], v[148:149]
	v_add_f64 v[20:21], v[24:25], v[20:21]
	v_fma_f64 v[24:25], v[178:179], s[36:37], -v[160:161]
	s_delay_alu instid0(VALU_DEP_1) | instskip(SKIP_1) | instid1(VALU_DEP_1)
	v_add_f64 v[22:23], v[24:25], v[22:23]
	v_fma_f64 v[24:25], v[224:225], s[58:59], v[164:165]
	;; [unrolled: 5-line block ×4, first 2 shown]
	v_add_f64 v[22:23], v[22:23], v[20:21]
	v_fma_f64 v[20:21], v[210:211], s[28:29], -v[194:195]
	s_delay_alu instid0(VALU_DEP_1) | instskip(SKIP_2) | instid1(VALU_DEP_2)
	v_add_f64 v[20:21], v[20:21], v[24:25]
	v_fma_f64 v[24:25], v[170:171], s[44:45], v[198:199]
	v_fma_f64 v[198:199], v[170:171], s[30:31], v[198:199]
	v_add_f64 v[24:25], v[24:25], v[26:27]
	v_fma_f64 v[26:27], v[126:127], s[22:23], -v[202:203]
	v_fma_f64 v[202:203], v[126:127], s[22:23], v[202:203]
	s_delay_alu instid0(VALU_DEP_2) | instskip(SKIP_1) | instid1(VALU_DEP_1)
	v_add_f64 v[26:27], v[26:27], v[204:205]
	v_mul_f64 v[204:205], v[166:167], s[14:15]
	v_fma_f64 v[208:209], v[172:173], s[18:19], v[204:205]
	v_fma_f64 v[204:205], v[172:173], s[52:53], v[204:205]
	s_delay_alu instid0(VALU_DEP_2) | instskip(SKIP_1) | instid1(VALU_DEP_1)
	v_add_f64 v[24:25], v[208:209], v[24:25]
	v_mul_f64 v[208:209], v[216:217], s[18:19]
	v_fma_f64 v[212:213], v[150:151], s[14:15], -v[208:209]
	s_delay_alu instid0(VALU_DEP_1) | instskip(SKIP_1) | instid1(VALU_DEP_1)
	v_add_f64 v[26:27], v[212:213], v[26:27]
	v_mul_f64 v[212:213], v[174:175], s[34:35]
	v_fma_f64 v[216:217], v[182:183], s[46:47], v[212:213]
	s_delay_alu instid0(VALU_DEP_1) | instskip(SKIP_1) | instid1(VALU_DEP_1)
	v_add_f64 v[24:25], v[216:217], v[24:25]
	v_mul_f64 v[216:217], v[218:219], s[46:47]
	v_fma_f64 v[218:219], v[162:163], s[34:35], -v[216:217]
	s_delay_alu instid0(VALU_DEP_1) | instskip(SKIP_1) | instid1(VALU_DEP_1)
	v_add_f64 v[26:27], v[218:219], v[26:27]
	v_mul_f64 v[218:219], v[192:193], s[20:21]
	v_fma_f64 v[222:223], v[214:215], s[58:59], v[218:219]
	s_delay_alu instid0(VALU_DEP_1) | instskip(SKIP_1) | instid1(VALU_DEP_1)
	;; [unrolled: 8-line block ×3, first 2 shown]
	v_add_f64 v[24:25], v[242:243], v[24:25]
	v_fma_f64 v[242:243], v[188:189], s[10:11], -v[232:233]
	v_add_f64 v[26:27], v[242:243], v[26:27]
	v_mul_f64 v[242:243], v[206:207], s[36:37]
	s_delay_alu instid0(VALU_DEP_1) | instskip(NEXT) | instid1(VALU_DEP_1)
	v_fma_f64 v[246:247], v[226:227], s[50:51], v[242:243]
	v_add_f64 v[24:25], v[246:247], v[24:25]
	v_fma_f64 v[246:247], v[200:201], s[36:37], -v[234:235]
	s_delay_alu instid0(VALU_DEP_1) | instskip(SKIP_1) | instid1(VALU_DEP_1)
	v_add_f64 v[246:247], v[246:247], v[26:27]
	v_fma_f64 v[26:27], v[230:231], s[48:49], v[248:249]
	v_add_f64 v[26:27], v[26:27], v[24:25]
	v_fma_f64 v[24:25], v[210:211], s[16:17], -v[236:237]
	s_delay_alu instid0(VALU_DEP_1)
	v_add_f64 v[24:25], v[24:25], v[246:247]
	scratch_load_b64 v[246:247], off, off offset:860 ; 8-byte Folded Reload
	s_waitcnt vmcnt(0)
	v_add_f64 v[198:199], v[198:199], v[246:247]
	scratch_load_b64 v[246:247], off, off offset:852 ; 8-byte Folded Reload
	v_add_f64 v[198:199], v[204:205], v[198:199]
	v_fma_f64 v[204:205], v[150:151], s[14:15], v[208:209]
	v_fma_f64 v[208:209], v[210:211], s[16:17], v[236:237]
	s_waitcnt vmcnt(0)
	v_add_f64 v[202:203], v[202:203], v[246:247]
	s_delay_alu instid0(VALU_DEP_1) | instskip(SKIP_1) | instid1(VALU_DEP_1)
	v_add_f64 v[202:203], v[204:205], v[202:203]
	v_fma_f64 v[204:205], v[182:183], s[40:41], v[212:213]
	v_add_f64 v[198:199], v[204:205], v[198:199]
	v_fma_f64 v[204:205], v[162:163], s[34:35], v[216:217]
	s_delay_alu instid0(VALU_DEP_1) | instskip(SKIP_1) | instid1(VALU_DEP_1)
	v_add_f64 v[202:203], v[204:205], v[202:203]
	v_fma_f64 v[204:205], v[214:215], s[24:25], v[218:219]
	v_add_f64 v[198:199], v[204:205], v[198:199]
	v_fma_f64 v[204:205], v[178:179], s[20:21], v[222:223]
	;; [unrolled: 5-line block ×4, first 2 shown]
	s_delay_alu instid0(VALU_DEP_1) | instskip(SKIP_1) | instid1(VALU_DEP_2)
	v_add_f64 v[202:203], v[204:205], v[202:203]
	v_fma_f64 v[204:205], v[230:231], s[26:27], v[248:249]
	v_add_f64 v[202:203], v[208:209], v[202:203]
	s_delay_alu instid0(VALU_DEP_2)
	v_add_f64 v[204:205], v[204:205], v[198:199]
	scratch_load_b64 v[198:199], off, off offset:844 ; 8-byte Folded Reload
	s_waitcnt vmcnt(0)
	v_add_f64 v[70:71], v[70:71], v[198:199]
	scratch_load_b64 v[198:199], off, off offset:836 ; 8-byte Folded Reload
	v_add_f64 v[70:71], v[138:139], v[70:71]
	v_fma_f64 v[138:139], v[150:151], s[10:11], v[142:143]
	s_waitcnt vmcnt(0)
	v_add_f64 v[136:137], v[136:137], v[198:199]
	s_delay_alu instid0(VALU_DEP_1) | instskip(SKIP_2) | instid1(VALU_DEP_2)
	v_add_f64 v[136:137], v[138:139], v[136:137]
	v_fma_f64 v[138:139], v[182:183], s[48:49], v[140:141]
	v_fma_f64 v[140:141], v[210:211], s[28:29], v[194:195]
	v_add_f64 v[70:71], v[138:139], v[70:71]
	v_fma_f64 v[138:139], v[162:163], s[16:17], v[144:145]
	s_delay_alu instid0(VALU_DEP_1) | instskip(SKIP_1) | instid1(VALU_DEP_1)
	v_add_f64 v[136:137], v[138:139], v[136:137]
	v_fma_f64 v[138:139], v[214:215], s[42:43], v[148:149]
	v_add_f64 v[70:71], v[138:139], v[70:71]
	v_fma_f64 v[138:139], v[178:179], s[36:37], v[160:161]
	s_delay_alu instid0(VALU_DEP_1) | instskip(SKIP_1) | instid1(VALU_DEP_1)
	v_add_f64 v[136:137], v[138:139], v[136:137]
	;; [unrolled: 5-line block ×3, first 2 shown]
	v_fma_f64 v[138:139], v[226:227], s[52:53], v[176:177]
	v_add_f64 v[70:71], v[138:139], v[70:71]
	v_fma_f64 v[138:139], v[200:201], s[14:15], v[180:181]
	s_delay_alu instid0(VALU_DEP_1) | instskip(SKIP_1) | instid1(VALU_DEP_2)
	v_add_f64 v[136:137], v[138:139], v[136:137]
	v_fma_f64 v[138:139], v[230:231], s[56:57], v[190:191]
	v_add_f64 v[216:217], v[140:141], v[136:137]
	s_delay_alu instid0(VALU_DEP_2)
	v_add_f64 v[218:219], v[138:139], v[70:71]
	scratch_load_b64 v[70:71], off, off offset:828 ; 8-byte Folded Reload
	v_dual_mov_b32 v143, v135 :: v_dual_mov_b32 v142, v134
	v_dual_mov_b32 v141, v133 :: v_dual_mov_b32 v140, v132
	s_waitcnt vmcnt(0)
	v_add_f64 v[28:29], v[28:29], v[70:71]
	s_delay_alu instid0(VALU_DEP_1)
	v_add_f64 v[28:29], v[36:37], v[28:29]
	v_fma_f64 v[36:37], v[182:183], s[18:19], v[46:47]
	scratch_load_b64 v[46:47], off, off offset:540 ; 8-byte Folded Reload
	v_add_f64 v[28:29], v[36:37], v[28:29]
	scratch_load_b64 v[36:37], off, off offset:820 ; 8-byte Folded Reload
	s_waitcnt vmcnt(0)
	v_add_f64 v[34:35], v[34:35], v[36:37]
	v_fma_f64 v[36:37], v[150:151], s[22:23], v[44:45]
	v_fma_f64 v[44:45], v[162:163], s[14:15], v[48:49]
	scratch_load_b64 v[48:49], off, off offset:564 ; 8-byte Folded Reload
	v_add_f64 v[34:35], v[36:37], v[34:35]
	v_fma_f64 v[36:37], v[214:215], s[48:49], v[50:51]
	s_delay_alu instid0(VALU_DEP_2) | instskip(SKIP_1) | instid1(VALU_DEP_3)
	v_add_f64 v[34:35], v[44:45], v[34:35]
	v_fma_f64 v[44:45], v[224:225], s[40:41], v[58:59]
	v_add_f64 v[28:29], v[36:37], v[28:29]
	v_fma_f64 v[36:37], v[178:179], s[16:17], v[56:57]
	s_delay_alu instid0(VALU_DEP_2) | instskip(NEXT) | instid1(VALU_DEP_2)
	v_add_f64 v[28:29], v[44:45], v[28:29]
	v_add_f64 v[34:35], v[36:37], v[34:35]
	v_fma_f64 v[36:37], v[226:227], s[38:39], v[62:63]
	v_fma_f64 v[44:45], v[188:189], s[34:35], v[60:61]
	s_delay_alu instid0(VALU_DEP_2) | instskip(NEXT) | instid1(VALU_DEP_2)
	v_add_f64 v[28:29], v[36:37], v[28:29]
	v_add_f64 v[34:35], v[44:45], v[34:35]
	v_fma_f64 v[36:37], v[200:201], s[28:29], v[64:65]
	v_fma_f64 v[44:45], v[230:231], s[12:13], v[66:67]
	s_delay_alu instid0(VALU_DEP_2) | instskip(SKIP_1) | instid1(VALU_DEP_3)
	v_add_f64 v[34:35], v[36:37], v[34:35]
	v_fma_f64 v[36:37], v[210:211], s[10:11], v[68:69]
	v_add_f64 v[170:171], v[44:45], v[28:29]
	scratch_load_b64 v[44:45], off, off offset:556 ; 8-byte Folded Reload
	v_mul_f64 v[28:29], v[146:147], s[10:11]
	v_add_f64 v[168:169], v[36:37], v[34:35]
	s_clause 0x1
	scratch_load_b64 v[34:35], off, off offset:532
	scratch_load_b64 v[36:37], off, off offset:524
	s_waitcnt vmcnt(1)
	v_add_f64 v[28:29], v[34:35], v[28:29]
	v_mul_f64 v[34:35], v[126:127], s[10:11]
	s_delay_alu instid0(VALU_DEP_2) | instskip(SKIP_1) | instid1(VALU_DEP_2)
	v_add_f64 v[28:29], v[28:29], v[106:107]
	s_waitcnt vmcnt(0)
	v_add_f64 v[34:35], v[34:35], -v[36:37]
	v_mul_f64 v[36:37], v[166:167], s[16:17]
	s_delay_alu instid0(VALU_DEP_2) | instskip(NEXT) | instid1(VALU_DEP_2)
	v_add_f64 v[34:35], v[34:35], v[104:105]
	v_add_f64 v[36:37], v[44:45], v[36:37]
	v_mul_f64 v[44:45], v[150:151], s[16:17]
	s_delay_alu instid0(VALU_DEP_2) | instskip(NEXT) | instid1(VALU_DEP_2)
	v_add_f64 v[28:29], v[36:37], v[28:29]
	v_add_f64 v[44:45], v[44:45], -v[46:47]
	v_mul_f64 v[46:47], v[174:175], s[20:21]
	v_mul_f64 v[36:37], v[162:163], s[20:21]
	s_delay_alu instid0(VALU_DEP_3) | instskip(NEXT) | instid1(VALU_DEP_3)
	v_add_f64 v[34:35], v[44:45], v[34:35]
	v_add_f64 v[46:47], v[48:49], v[46:47]
	scratch_load_b64 v[48:49], off, off offset:548 ; 8-byte Folded Reload
	v_mul_f64 v[44:45], v[192:193], s[22:23]
	v_add_f64 v[28:29], v[46:47], v[28:29]
	v_mul_f64 v[46:47], v[178:179], s[22:23]
	s_waitcnt vmcnt(0)
	v_add_f64 v[36:37], v[36:37], -v[48:49]
	scratch_load_b64 v[48:49], off, off offset:588 ; 8-byte Folded Reload
	v_add_f64 v[34:35], v[36:37], v[34:35]
	v_mul_f64 v[36:37], v[196:197], s[28:29]
	s_waitcnt vmcnt(0)
	v_add_f64 v[44:45], v[48:49], v[44:45]
	scratch_load_b64 v[48:49], off, off offset:572 ; 8-byte Folded Reload
	v_add_f64 v[28:29], v[44:45], v[28:29]
	v_mul_f64 v[44:45], v[188:189], s[28:29]
	s_waitcnt vmcnt(0)
	v_add_f64 v[46:47], v[46:47], -v[48:49]
	scratch_load_b64 v[48:49], off, off offset:596 ; 8-byte Folded Reload
	v_add_f64 v[34:35], v[46:47], v[34:35]
	v_mul_f64 v[46:47], v[206:207], s[34:35]
	s_waitcnt vmcnt(0)
	v_add_f64 v[36:37], v[48:49], v[36:37]
	scratch_load_b64 v[48:49], off, off offset:580 ; 8-byte Folded Reload
	;; [unrolled: 10-line block ×3, first 2 shown]
	v_add_f64 v[28:29], v[46:47], v[28:29]
	v_mul_f64 v[46:47], v[210:211], s[36:37]
	s_waitcnt vmcnt(0)
	v_add_f64 v[36:37], v[36:37], -v[48:49]
	scratch_load_b64 v[48:49], off, off offset:636 ; 8-byte Folded Reload
	v_add_f64 v[34:35], v[36:37], v[34:35]
	s_waitcnt vmcnt(0)
	v_add_f64 v[44:45], v[48:49], v[44:45]
	scratch_load_b64 v[48:49], off, off offset:620 ; 8-byte Folded Reload
	v_add_f64 v[106:107], v[44:45], v[28:29]
	s_waitcnt vmcnt(0)
	v_add_f64 v[46:47], v[46:47], -v[48:49]
	s_delay_alu instid0(VALU_DEP_1)
	v_add_f64 v[104:105], v[46:47], v[34:35]
	s_clause 0x1
	scratch_load_b64 v[28:29], off, off offset:676
	scratch_load_b64 v[34:35], off, off offset:804
	s_waitcnt vmcnt(0)
	v_add_f64 v[28:29], v[34:35], v[28:29]
	s_clause 0x1
	scratch_load_b64 v[34:35], off, off offset:796
	scratch_load_b64 v[36:37], off, off offset:812
	s_waitcnt vmcnt(0)
	v_add_f64 v[34:35], v[36:37], v[34:35]
	scratch_load_b64 v[36:37], off, off offset:700 ; 8-byte Folded Reload
	s_waitcnt vmcnt(0)
	v_add_f64 v[28:29], v[28:29], v[36:37]
	scratch_load_b64 v[36:37], off, off offset:660 ; 8-byte Folded Reload
	;; [unrolled: 3-line block ×10, first 2 shown]
	v_add_f64 v[28:29], v[28:29], v[130:131]
	s_delay_alu instid0(VALU_DEP_1)
	v_add_f64 v[28:29], v[28:29], v[124:125]
	s_waitcnt vmcnt(0)
	v_add_f64 v[34:35], v[34:35], v[36:37]
	scratch_load_b64 v[36:37], off, off offset:788 ; 8-byte Folded Reload
	s_waitcnt vmcnt(0)
	v_add_f64 v[34:35], v[34:35], v[36:37]
	scratch_load_b64 v[36:37], off, off offset:780 ; 8-byte Folded Reload
	v_add_f64 v[34:35], v[34:35], v[128:129]
	s_waitcnt vmcnt(0)
	v_add_f64 v[28:29], v[28:29], v[36:37]
	scratch_load_b64 v[36:37], off, off offset:516 ; 8-byte Folded Reload
	s_waitcnt vmcnt(0)
	v_add_f64 v[34:35], v[34:35], v[36:37]
	scratch_load_b64 v[36:37], off, off offset:436 ; 8-byte Folded Reload
	;; [unrolled: 3-line block ×13, first 2 shown]
	s_waitcnt vmcnt(0)
	v_add_f64 v[34:35], v[34:35], v[28:29]
	scratch_load_b32 v29, off, off offset:248 ; 4-byte Folded Reload
	v_lshrrev_b32_e32 v28, 1, v54
	s_delay_alu instid0(VALU_DEP_1) | instskip(SKIP_1) | instid1(VALU_DEP_1)
	v_mul_u32_u24_e32 v28, 34, v28
	s_waitcnt vmcnt(0)
	v_or_b32_e32 v28, v28, v29
	s_delay_alu instid0(VALU_DEP_1)
	v_lshl_add_u32 v28, v28, 4, v52
	ds_store_b128 v28, v[238:241] offset:64
	ds_store_b128 v28, v[152:155] offset:448
	;; [unrolled: 1-line block ×15, first 2 shown]
	ds_store_b128 v28, v[34:37]
	ds_store_b128 v28, v[184:187] offset:512
.LBB0_11:
	s_or_b32 exec_lo, exec_lo, s1
	s_waitcnt lgkmcnt(0)
	s_waitcnt_vscnt null, 0x0
	s_barrier
	buffer_gl0_inv
	ds_load_b128 v[0:3], v53
	ds_load_b128 v[176:179], v53 offset:1088
	ds_load_b128 v[24:27], v53 offset:9248
	;; [unrolled: 1-line block ×13, first 2 shown]
	v_lshlrev_b32_e32 v32, 1, v54
	s_mov_b32 s1, exec_lo
	v_mov_b32_e32 v234, v54
	s_and_b32 s10, s1, vcc_lo
	s_delay_alu instid0(SALU_CYCLE_1)
	s_mov_b32 exec_lo, s10
	s_cbranch_execz .LBB0_13
; %bb.12:
	ds_load_b128 v[152:155], v53 offset:7616
	ds_load_b128 v[156:159], v53 offset:15776
.LBB0_13:
	s_or_b32 exec_lo, exec_lo, s1
	v_add_co_u32 v33, s1, 0xffffffde, v234
	s_delay_alu instid0(VALU_DEP_1) | instskip(NEXT) | instid1(VALU_DEP_2)
	v_add_co_ci_u32_e64 v34, null, 0, -1, s1
	v_dual_cndmask_b32 v56, v33, v234 :: v_dual_and_b32 v35, 0xff, v40
	s_delay_alu instid0(VALU_DEP_2) | instskip(NEXT) | instid1(VALU_DEP_2)
	v_cndmask_b32_e64 v57, v34, 0, vcc_lo
	v_mul_lo_u16 v35, 0xf1, v35
	s_delay_alu instid0(VALU_DEP_2) | instskip(NEXT) | instid1(VALU_DEP_2)
	v_lshlrev_b64 v[33:34], 4, v[56:57]
	v_lshrrev_b16 v51, 13, v35
	s_delay_alu instid0(VALU_DEP_2) | instskip(NEXT) | instid1(VALU_DEP_2)
	v_add_co_u32 v33, s1, s2, v33
	v_mul_lo_u16 v35, v51, 34
	s_delay_alu instid0(VALU_DEP_4) | instskip(SKIP_1) | instid1(VALU_DEP_3)
	v_add_co_ci_u32_e64 v34, s1, s3, v34, s1
	v_cmp_lt_u16_e64 s1, 33, v234
	v_sub_nc_u16 v35, v40, v35
	s_delay_alu instid0(VALU_DEP_1) | instskip(NEXT) | instid1(VALU_DEP_1)
	v_and_b32_e32 v54, 0xff, v35
	v_lshlrev_b32_e32 v35, 4, v54
	s_clause 0x1
	global_load_b128 v[132:135], v[33:34], off offset:512
	global_load_b128 v[128:131], v35, s[2:3] offset:512
	s_waitcnt vmcnt(1) lgkmcnt(3)
	v_mul_f64 v[33:34], v[30:31], v[134:135]
	s_delay_alu instid0(VALU_DEP_1) | instskip(SKIP_1) | instid1(VALU_DEP_1)
	v_fma_f64 v[33:34], v[28:29], v[132:133], -v[33:34]
	v_mul_f64 v[28:29], v[28:29], v[134:135]
	v_fma_f64 v[28:29], v[30:31], v[132:133], v[28:29]
	s_waitcnt vmcnt(0)
	v_mul_f64 v[30:31], v[26:27], v[130:131]
	s_delay_alu instid0(VALU_DEP_1) | instskip(SKIP_1) | instid1(VALU_DEP_1)
	v_fma_f64 v[30:31], v[24:25], v[128:129], -v[30:31]
	v_mul_f64 v[24:25], v[24:25], v[130:131]
	v_fma_f64 v[26:27], v[26:27], v[128:129], v[24:25]
	v_and_b32_e32 v25, 0xff, v245
	s_delay_alu instid0(VALU_DEP_1) | instskip(NEXT) | instid1(VALU_DEP_1)
	v_mul_lo_u16 v24, 0xf1, v25
	v_lshrrev_b16 v67, 13, v24
	v_and_b32_e32 v24, 0xffff, v42
	s_delay_alu instid0(VALU_DEP_2) | instskip(NEXT) | instid1(VALU_DEP_2)
	v_mul_lo_u16 v35, v67, 34
	v_mul_u32_u24_e32 v24, 0xf0f1, v24
	s_delay_alu instid0(VALU_DEP_2) | instskip(NEXT) | instid1(VALU_DEP_2)
	v_sub_nc_u16 v35, v245, v35
	v_lshrrev_b32_e32 v68, 21, v24
	s_delay_alu instid0(VALU_DEP_2) | instskip(NEXT) | instid1(VALU_DEP_2)
	v_and_b32_e32 v70, 0xff, v35
	v_mul_lo_u16 v36, v68, 34
	s_delay_alu instid0(VALU_DEP_1) | instskip(NEXT) | instid1(VALU_DEP_3)
	v_sub_nc_u16 v69, v42, v36
	v_lshlrev_b32_e32 v36, 4, v70
	s_delay_alu instid0(VALU_DEP_2) | instskip(NEXT) | instid1(VALU_DEP_1)
	v_and_b32_e32 v35, 0xffff, v69
	v_lshlrev_b32_e32 v35, 4, v35
	s_clause 0x1
	global_load_b128 v[144:147], v36, s[2:3] offset:512
	global_load_b128 v[136:139], v35, s[2:3] offset:512
	s_waitcnt vmcnt(1)
	v_mul_f64 v[35:36], v[22:23], v[146:147]
	s_delay_alu instid0(VALU_DEP_1) | instskip(SKIP_1) | instid1(VALU_DEP_1)
	v_fma_f64 v[35:36], v[20:21], v[144:145], -v[35:36]
	v_mul_f64 v[20:21], v[20:21], v[146:147]
	v_fma_f64 v[20:21], v[22:23], v[144:145], v[20:21]
	s_waitcnt vmcnt(0)
	v_mul_f64 v[22:23], v[18:19], v[138:139]
	s_delay_alu instid0(VALU_DEP_1) | instskip(SKIP_1) | instid1(VALU_DEP_1)
	v_fma_f64 v[22:23], v[16:17], v[136:137], -v[22:23]
	v_mul_f64 v[16:17], v[16:17], v[138:139]
	v_fma_f64 v[44:45], v[18:19], v[136:137], v[16:17]
	v_and_b32_e32 v16, 0xffff, v39
	v_add_f64 v[19:20], v[182:183], -v[20:21]
	v_cndmask_b32_e64 v21, 0, 0x44, s1
	s_delay_alu instid0(VALU_DEP_3) | instskip(NEXT) | instid1(VALU_DEP_2)
	v_mul_u32_u24_e32 v16, 0xf0f1, v16
	v_add_nc_u32_e32 v21, v56, v21
	s_delay_alu instid0(VALU_DEP_2) | instskip(NEXT) | instid1(VALU_DEP_2)
	v_lshrrev_b32_e32 v71, 21, v16
	v_lshl_add_u32 v195, v21, 4, v52
	s_delay_alu instid0(VALU_DEP_2) | instskip(NEXT) | instid1(VALU_DEP_1)
	v_mul_lo_u16 v16, v71, 34
	v_sub_nc_u16 v39, v39, v16
	v_and_b32_e32 v16, 0xffff, v41
	s_delay_alu instid0(VALU_DEP_2) | instskip(NEXT) | instid1(VALU_DEP_2)
	v_and_b32_e32 v18, 0xffff, v39
	v_mul_u32_u24_e32 v16, 0xf0f1, v16
	s_delay_alu instid0(VALU_DEP_2) | instskip(NEXT) | instid1(VALU_DEP_2)
	v_lshlrev_b32_e32 v18, 4, v18
	v_lshrrev_b32_e32 v104, 21, v16
	s_delay_alu instid0(VALU_DEP_1) | instskip(NEXT) | instid1(VALU_DEP_1)
	v_mul_lo_u16 v17, v104, 34
	v_sub_nc_u16 v105, v41, v17
	s_delay_alu instid0(VALU_DEP_1) | instskip(NEXT) | instid1(VALU_DEP_1)
	v_and_b32_e32 v17, 0xffff, v105
	v_lshlrev_b32_e32 v17, 4, v17
	s_clause 0x1
	global_load_b128 v[189:192], v17, s[2:3] offset:512
	global_load_b128 v[148:151], v18, s[2:3] offset:512
	s_waitcnt vmcnt(1)
	v_mul_f64 v[17:18], v[10:11], v[191:192]
	s_delay_alu instid0(VALU_DEP_1) | instskip(SKIP_3) | instid1(VALU_DEP_4)
	v_fma_f64 v[47:48], v[8:9], v[189:190], -v[17:18]
	v_mul_f64 v[8:9], v[8:9], v[191:192]
	v_add_f64 v[17:18], v[180:181], -v[35:36]
	v_add_f64 v[35:36], v[170:171], -v[44:45]
	v_add_f64 v[47:48], v[172:173], -v[47:48]
	s_delay_alu instid0(VALU_DEP_4) | instskip(SKIP_2) | instid1(VALU_DEP_4)
	v_fma_f64 v[49:50], v[10:11], v[189:190], v[8:9]
	s_waitcnt vmcnt(0) lgkmcnt(1)
	v_mul_f64 v[8:9], v[14:15], v[150:151]
	v_fma_f64 v[45:46], v[170:171], 2.0, -v[35:36]
	v_add_f64 v[10:11], v[178:179], -v[26:27]
	v_fma_f64 v[26:27], v[180:181], 2.0, -v[17:18]
	v_add_f64 v[49:50], v[174:175], -v[49:50]
	v_fma_f64 v[57:58], v[12:13], v[148:149], -v[8:9]
	v_mul_f64 v[8:9], v[12:13], v[150:151]
	s_delay_alu instid0(VALU_DEP_1) | instskip(SKIP_3) | instid1(VALU_DEP_3)
	v_fma_f64 v[59:60], v[14:15], v[148:149], v[8:9]
	v_and_b32_e32 v8, 0xffff, v38
	v_and_b32_e32 v9, 0xffff, v43
	v_fma_f64 v[14:15], v[178:179], 2.0, -v[10:11]
	v_mul_u32_u24_e32 v8, 0xf0f1, v8
	s_delay_alu instid0(VALU_DEP_3) | instskip(NEXT) | instid1(VALU_DEP_2)
	v_mul_u32_u24_e32 v9, 0xf0f1, v9
	v_lshrrev_b32_e32 v8, 21, v8
	s_delay_alu instid0(VALU_DEP_2) | instskip(NEXT) | instid1(VALU_DEP_2)
	v_lshrrev_b32_e32 v106, 21, v9
	v_mul_lo_u16 v8, v8, 34
	s_delay_alu instid0(VALU_DEP_2) | instskip(NEXT) | instid1(VALU_DEP_2)
	v_mul_lo_u16 v9, v106, 34
	v_sub_nc_u16 v8, v38, v8
	s_delay_alu instid0(VALU_DEP_2) | instskip(NEXT) | instid1(VALU_DEP_2)
	v_sub_nc_u16 v107, v43, v9
	v_and_b32_e32 v125, 0xffff, v8
	s_delay_alu instid0(VALU_DEP_2) | instskip(NEXT) | instid1(VALU_DEP_2)
	v_and_b32_e32 v8, 0xffff, v107
	v_lshlrev_b32_e32 v9, 4, v125
	s_delay_alu instid0(VALU_DEP_2)
	v_lshlrev_b32_e32 v8, 4, v8
	s_clause 0x1
	global_load_b128 v[204:207], v8, s[2:3] offset:512
	global_load_b128 v[217:220], v9, s[2:3] offset:512
	v_add_f64 v[170:171], v[166:167], -v[59:60]
	s_waitcnt vmcnt(0) lgkmcnt(0)
	s_barrier
	buffer_gl0_inv
	v_fma_f64 v[166:167], v[166:167], 2.0, -v[170:171]
	v_mul_f64 v[8:9], v[6:7], v[206:207]
	s_delay_alu instid0(VALU_DEP_1) | instskip(SKIP_2) | instid1(VALU_DEP_2)
	v_fma_f64 v[37:38], v[4:5], v[204:205], -v[8:9]
	v_mul_f64 v[4:5], v[4:5], v[206:207]
	v_add_f64 v[8:9], v[176:177], -v[30:31]
	v_fma_f64 v[61:62], v[6:7], v[204:205], v[4:5]
	v_mul_f64 v[4:5], v[158:159], v[219:220]
	v_add_f64 v[6:7], v[2:3], -v[28:29]
	v_fma_f64 v[28:29], v[182:183], 2.0, -v[19:20]
	v_fma_f64 v[12:13], v[176:177], 2.0, -v[8:9]
	s_delay_alu instid0(VALU_DEP_4)
	v_fma_f64 v[63:64], v[156:157], v[217:218], -v[4:5]
	v_mul_f64 v[4:5], v[156:157], v[219:220]
	v_fma_f64 v[2:3], v[2:3], 2.0, -v[6:7]
	v_fma_f64 v[156:157], v[172:173], 2.0, -v[47:48]
	v_add_f64 v[172:173], v[160:161], -v[37:38]
	v_add_f64 v[236:237], v[152:153], -v[63:64]
	v_fma_f64 v[65:66], v[158:159], v[217:218], v[4:5]
	v_add_f64 v[4:5], v[0:1], -v[33:34]
	v_add_f64 v[33:34], v[168:169], -v[22:23]
	v_fma_f64 v[158:159], v[174:175], 2.0, -v[49:50]
	v_add_f64 v[174:175], v[162:163], -v[61:62]
	v_fma_f64 v[160:161], v[160:161], 2.0, -v[172:173]
	;; [unrolled: 2-line block ×3, first 2 shown]
	v_fma_f64 v[43:44], v[168:169], 2.0, -v[33:34]
	v_add_f64 v[168:169], v[164:165], -v[57:58]
	v_fma_f64 v[162:163], v[162:163], 2.0, -v[174:175]
	ds_store_b128 v195, v[4:7] offset:544
	ds_store_b128 v195, v[0:3]
	v_and_b32_e32 v0, 0xffff, v51
	v_fma_f64 v[164:165], v[164:165], 2.0, -v[168:169]
	s_delay_alu instid0(VALU_DEP_2) | instskip(NEXT) | instid1(VALU_DEP_1)
	v_mul_u32_u24_e32 v0, 0x44, v0
	v_add_nc_u32_e32 v0, v0, v54
	s_delay_alu instid0(VALU_DEP_1) | instskip(SKIP_4) | instid1(VALU_DEP_1)
	v_lshl_add_u32 v221, v0, 4, v52
	v_and_b32_e32 v0, 0xffff, v67
	ds_store_b128 v221, v[8:11] offset:544
	ds_store_b128 v221, v[12:15]
	v_mul_u32_u24_e32 v0, 0x44, v0
	v_add_nc_u32_e32 v0, v0, v70
	s_delay_alu instid0(VALU_DEP_1) | instskip(SKIP_4) | instid1(VALU_DEP_1)
	v_lshl_add_u32 v194, v0, 4, v52
	v_mad_u16 v0, 0x44, v68, v69
	ds_store_b128 v194, v[26:29]
	ds_store_b128 v194, v[17:20] offset:544
	v_and_b32_e32 v0, 0xffff, v0
	v_lshl_add_u32 v183, v0, 4, v52
	v_mad_u16 v0, 0x44, v104, v105
	ds_store_b128 v183, v[43:46]
	ds_store_b128 v183, v[33:36] offset:544
	v_and_b32_e32 v0, 0xffff, v0
	s_delay_alu instid0(VALU_DEP_1) | instskip(SKIP_4) | instid1(VALU_DEP_1)
	v_lshl_add_u32 v193, v0, 4, v52
	v_mad_u16 v0, 0x44, v71, v39
	ds_store_b128 v193, v[156:159]
	ds_store_b128 v193, v[47:50] offset:544
	v_and_b32_e32 v0, 0xffff, v0
	v_lshl_add_u32 v180, v0, 4, v52
	v_mad_u16 v0, 0x44, v106, v107
	ds_store_b128 v180, v[164:167]
	ds_store_b128 v180, v[168:171] offset:544
	v_and_b32_e32 v0, 0xffff, v0
	s_delay_alu instid0(VALU_DEP_1)
	v_lshl_add_u32 v164, v0, 4, v52
	ds_store_b128 v164, v[160:163]
	ds_store_b128 v164, v[172:175] offset:544
	s_and_saveexec_b32 s1, vcc_lo
	s_cbranch_execz .LBB0_15
; %bb.14:
	v_fma_f64 v[2:3], v[154:155], 2.0, -v[238:239]
	v_fma_f64 v[0:1], v[152:153], 2.0, -v[236:237]
	v_lshl_add_u32 v4, v125, 4, v52
	ds_store_b128 v4, v[0:3] offset:15232
	ds_store_b128 v4, v[236:239] offset:15776
.LBB0_15:
	s_or_b32 exec_lo, exec_lo, s1
	v_lshlrev_b32_e32 v0, 4, v32
	s_waitcnt lgkmcnt(0)
	s_barrier
	buffer_gl0_inv
	v_lshrrev_b32_e32 v15, 22, v24
	s_clause 0x1
	global_load_b128 v[156:159], v0, s[2:3] offset:1056
	global_load_b128 v[152:155], v0, s[2:3] offset:1072
	v_mul_lo_u16 v0, 0x79, v25
	s_mov_b32 s10, 0xe8584caa
	s_mov_b32 s11, 0x3febb67a
	v_mul_lo_u16 v15, 0x44, v15
	s_mov_b32 s13, 0xbfebb67a
	v_lshrrev_b16 v0, 13, v0
	s_mov_b32 s12, s10
	s_mov_b32 s15, 0xbfee6f0e
	v_sub_nc_u16 v39, v42, v15
	s_mov_b32 s16, 0x372fe950
	v_mul_lo_u16 v0, 0x44, v0
	s_mov_b32 s17, 0x3fd3c6ef
	s_delay_alu instid0(VALU_DEP_2) | instskip(NEXT) | instid1(VALU_DEP_2)
	v_lshlrev_b16 v15, 5, v39
	v_sub_nc_u16 v0, v245, v0
	s_delay_alu instid0(VALU_DEP_2) | instskip(NEXT) | instid1(VALU_DEP_2)
	v_and_b32_e32 v15, 0xffff, v15
	v_and_b32_e32 v0, 0xff, v0
	s_delay_alu instid0(VALU_DEP_2) | instskip(NEXT) | instid1(VALU_DEP_2)
	v_add_co_u32 v23, s1, s2, v15
	v_lshlrev_b32_e32 v1, 5, v0
	v_add_co_ci_u32_e64 v24, null, s3, 0, s1
	v_lshl_add_u32 v188, v0, 4, v52
	s_clause 0x1
	global_load_b128 v[176:179], v1, s[2:3] offset:1056
	global_load_b128 v[160:163], v1, s[2:3] offset:1072
	ds_load_b128 v[1:4], v53 offset:5440
	ds_load_b128 v[5:8], v53 offset:10880
	;; [unrolled: 1-line block ×6, first 2 shown]
	v_and_b32_e32 v0, 0xffff, v39
	s_delay_alu instid0(VALU_DEP_1)
	v_lshl_add_u32 v182, v0, 4, v52
	s_waitcnt vmcnt(3) lgkmcnt(5)
	v_mul_f64 v[13:14], v[3:4], v[158:159]
	v_mul_f64 v[21:22], v[1:2], v[158:159]
	s_waitcnt vmcnt(2) lgkmcnt(4)
	v_mul_f64 v[33:34], v[7:8], v[154:155]
	v_mul_f64 v[35:36], v[5:6], v[154:155]
	s_waitcnt lgkmcnt(3)
	v_mul_f64 v[37:38], v[11:12], v[158:159]
	v_mul_f64 v[43:44], v[9:10], v[158:159]
	s_waitcnt lgkmcnt(1)
	v_mul_f64 v[45:46], v[27:28], v[154:155]
	v_mul_f64 v[47:48], v[25:26], v[154:155]
	s_waitcnt vmcnt(1) lgkmcnt(0)
	v_mul_f64 v[49:50], v[31:32], v[178:179]
	v_mul_f64 v[56:57], v[29:30], v[178:179]
	v_fma_f64 v[13:14], v[1:2], v[156:157], -v[13:14]
	v_fma_f64 v[21:22], v[3:4], v[156:157], v[21:22]
	v_fma_f64 v[33:34], v[5:6], v[152:153], -v[33:34]
	v_fma_f64 v[35:36], v[7:8], v[152:153], v[35:36]
	ds_load_b128 v[1:4], v53 offset:13056
	ds_load_b128 v[5:8], v53 offset:14144
	s_clause 0x1
	global_load_b128 v[222:225], v[23:24], off offset:1056
	global_load_b128 v[230:233], v[23:24], off offset:1072
	v_fma_f64 v[37:38], v[9:10], v[156:157], -v[37:38]
	v_fma_f64 v[43:44], v[11:12], v[156:157], v[43:44]
	v_fma_f64 v[25:26], v[25:26], v[152:153], -v[45:46]
	v_fma_f64 v[27:28], v[27:28], v[152:153], v[47:48]
	s_waitcnt vmcnt(2) lgkmcnt(1)
	v_mul_f64 v[9:10], v[3:4], v[162:163]
	v_mul_f64 v[11:12], v[1:2], v[162:163]
	v_fma_f64 v[45:46], v[29:30], v[176:177], -v[49:50]
	v_fma_f64 v[47:48], v[31:32], v[176:177], v[56:57]
	v_add_f64 v[31:32], v[43:44], -v[27:28]
	v_fma_f64 v[49:50], v[1:2], v[160:161], -v[9:10]
	v_fma_f64 v[56:57], v[3:4], v[160:161], v[11:12]
	ds_load_b128 v[1:4], v53 offset:8704
	ds_load_b128 v[9:12], v53 offset:9792
	s_waitcnt vmcnt(1) lgkmcnt(1)
	v_mul_f64 v[23:24], v[3:4], v[224:225]
	s_delay_alu instid0(VALU_DEP_1) | instskip(SKIP_2) | instid1(VALU_DEP_2)
	v_fma_f64 v[58:59], v[1:2], v[222:223], -v[23:24]
	v_mul_f64 v[1:2], v[1:2], v[224:225]
	v_add_f64 v[23:24], v[13:14], -v[33:34]
	v_fma_f64 v[60:61], v[3:4], v[222:223], v[1:2]
	s_waitcnt vmcnt(0)
	v_mul_f64 v[1:2], v[7:8], v[232:233]
	s_delay_alu instid0(VALU_DEP_1) | instskip(SKIP_1) | instid1(VALU_DEP_1)
	v_fma_f64 v[62:63], v[5:6], v[230:231], -v[1:2]
	v_mul_f64 v[1:2], v[5:6], v[232:233]
	v_fma_f64 v[64:65], v[7:8], v[230:231], v[1:2]
	v_lshrrev_b32_e32 v1, 22, v16
	s_delay_alu instid0(VALU_DEP_1) | instskip(NEXT) | instid1(VALU_DEP_1)
	v_mul_lo_u16 v1, 0x44, v1
	v_sub_nc_u16 v51, v41, v1
	v_add_f64 v[41:42], v[47:48], v[56:57]
	s_delay_alu instid0(VALU_DEP_2) | instskip(SKIP_1) | instid1(VALU_DEP_2)
	v_lshlrev_b16 v1, 5, v51
	v_and_b32_e32 v0, 0xffff, v51
	v_and_b32_e32 v1, 0xffff, v1
	s_delay_alu instid0(VALU_DEP_2) | instskip(NEXT) | instid1(VALU_DEP_2)
	v_lshl_add_u32 v181, v0, 4, v52
	v_add_co_u32 v1, s1, s2, v1
	s_delay_alu instid0(VALU_DEP_1)
	v_add_co_ci_u32_e64 v2, null, s3, 0, s1
	s_clause 0x1
	global_load_b128 v[3:6], v[1:2], off offset:1056
	global_load_b128 v[226:229], v[1:2], off offset:1072
	s_waitcnt vmcnt(1) lgkmcnt(0)
	v_mul_f64 v[1:2], v[11:12], v[5:6]
	scratch_store_b128 off, v[3:6], off offset:356 ; 16-byte Folded Spill
	v_fma_f64 v[66:67], v[9:10], v[3:4], -v[1:2]
	v_mul_f64 v[1:2], v[9:10], v[5:6]
	v_add_f64 v[9:10], v[13:14], v[33:34]
	s_delay_alu instid0(VALU_DEP_2) | instskip(SKIP_3) | instid1(VALU_DEP_1)
	v_fma_f64 v[68:69], v[11:12], v[3:4], v[1:2]
	ds_load_b128 v[1:4], v53 offset:15232
	s_waitcnt vmcnt(0) lgkmcnt(0)
	v_mul_f64 v[5:6], v[3:4], v[228:229]
	v_fma_f64 v[70:71], v[1:2], v[226:227], -v[5:6]
	v_mul_f64 v[1:2], v[1:2], v[228:229]
	s_delay_alu instid0(VALU_DEP_1)
	v_fma_f64 v[104:105], v[3:4], v[226:227], v[1:2]
	ds_load_b128 v[1:4], v53
	ds_load_b128 v[5:8], v53 offset:1088
	s_waitcnt lgkmcnt(1)
	v_fma_f64 v[11:12], v[9:10], -0.5, v[1:2]
	v_add_f64 v[9:10], v[21:22], v[35:36]
	v_add_f64 v[1:2], v[1:2], v[13:14]
	s_delay_alu instid0(VALU_DEP_2) | instskip(SKIP_2) | instid1(VALU_DEP_4)
	v_fma_f64 v[15:16], v[9:10], -0.5, v[3:4]
	v_add_f64 v[3:4], v[3:4], v[21:22]
	v_add_f64 v[21:22], v[21:22], -v[35:36]
	v_add_f64 v[1:2], v[1:2], v[33:34]
	s_delay_alu instid0(VALU_DEP_3) | instskip(NEXT) | instid1(VALU_DEP_3)
	v_add_f64 v[3:4], v[3:4], v[35:36]
	v_fma_f64 v[9:10], v[21:22], s[10:11], v[11:12]
	v_fma_f64 v[13:14], v[21:22], s[12:13], v[11:12]
	v_add_f64 v[21:22], v[37:38], v[25:26]
	v_fma_f64 v[11:12], v[23:24], s[12:13], v[15:16]
	v_fma_f64 v[15:16], v[23:24], s[10:11], v[15:16]
	s_waitcnt lgkmcnt(0)
	s_delay_alu instid0(VALU_DEP_3) | instskip(SKIP_2) | instid1(VALU_DEP_2)
	v_fma_f64 v[23:24], v[21:22], -0.5, v[5:6]
	v_add_f64 v[21:22], v[43:44], v[27:28]
	v_add_f64 v[5:6], v[5:6], v[37:38]
	v_fma_f64 v[29:30], v[21:22], -0.5, v[7:8]
	v_add_f64 v[7:8], v[7:8], v[43:44]
	s_delay_alu instid0(VALU_DEP_3) | instskip(SKIP_2) | instid1(VALU_DEP_4)
	v_add_f64 v[5:6], v[5:6], v[25:26]
	v_fma_f64 v[21:22], v[31:32], s[10:11], v[23:24]
	v_add_f64 v[43:44], v[47:48], -v[56:57]
	v_add_f64 v[7:8], v[7:8], v[27:28]
	v_add_f64 v[27:28], v[37:38], -v[25:26]
	v_add_f64 v[37:38], v[45:46], v[49:50]
	v_fma_f64 v[25:26], v[31:32], s[12:13], v[23:24]
	s_delay_alu instid0(VALU_DEP_3)
	v_fma_f64 v[23:24], v[27:28], s[12:13], v[29:30]
	v_fma_f64 v[27:28], v[27:28], s[10:11], v[29:30]
	ds_load_b128 v[29:32], v53 offset:2176
	ds_load_b128 v[33:36], v53 offset:3264
	s_waitcnt lgkmcnt(0)
	s_waitcnt_vscnt null, 0x0
	s_barrier
	buffer_gl0_inv
	ds_store_b128 v53, v[1:4]
	ds_store_b128 v53, v[9:12] offset:1088
	ds_store_b128 v53, v[5:8] offset:3264
	;; [unrolled: 1-line block ×5, first 2 shown]
	v_fma_f64 v[37:38], v[37:38], -0.5, v[29:30]
	v_add_f64 v[29:30], v[29:30], v[45:46]
	v_fma_f64 v[106:107], v[41:42], -0.5, v[31:32]
	v_add_f64 v[31:32], v[31:32], v[47:48]
	v_add_f64 v[47:48], v[45:46], -v[49:50]
	v_lshlrev_b32_e32 v4, 6, v234
	v_fma_f64 v[41:42], v[43:44], s[10:11], v[37:38]
	v_add_f64 v[29:30], v[29:30], v[49:50]
	v_fma_f64 v[45:46], v[43:44], s[12:13], v[37:38]
	v_add_f64 v[37:38], v[58:59], v[62:63]
	v_add_f64 v[49:50], v[60:61], v[64:65]
	;; [unrolled: 1-line block ×3, first 2 shown]
	v_add_f64 v[56:57], v[60:61], -v[64:65]
	v_fma_f64 v[43:44], v[47:48], s[12:13], v[106:107]
	v_fma_f64 v[47:48], v[47:48], s[10:11], v[106:107]
	ds_store_b128 v188, v[29:32] offset:6528
	ds_store_b128 v188, v[41:44] offset:7616
	v_fma_f64 v[37:38], v[37:38], -0.5, v[33:34]
	v_fma_f64 v[49:50], v[49:50], -0.5, v[35:36]
	v_add_f64 v[33:34], v[33:34], v[58:59]
	v_add_f64 v[58:59], v[58:59], -v[62:63]
	v_add_f64 v[35:36], v[35:36], v[60:61]
	ds_store_b128 v188, v[45:48] offset:8704
	v_fma_f64 v[168:169], v[56:57], s[10:11], v[37:38]
	v_fma_f64 v[172:173], v[56:57], s[12:13], v[37:38]
	v_add_f64 v[37:38], v[66:67], v[70:71]
	v_fma_f64 v[170:171], v[58:59], s[12:13], v[49:50]
	v_fma_f64 v[174:175], v[58:59], s[10:11], v[49:50]
	v_add_f64 v[49:50], v[68:69], v[104:105]
	v_add_f64 v[56:57], v[68:69], -v[104:105]
	v_add_f64 v[58:59], v[66:67], -v[70:71]
	v_add_f64 v[35:36], v[35:36], v[64:65]
	v_add_f64 v[33:34], v[33:34], v[62:63]
	v_fma_f64 v[37:38], v[37:38], -0.5, v[17:18]
	v_add_f64 v[17:18], v[17:18], v[66:67]
	v_fma_f64 v[49:50], v[49:50], -0.5, v[19:20]
	v_add_f64 v[19:20], v[19:20], v[68:69]
	ds_store_b128 v182, v[33:36] offset:9792
	v_fma_f64 v[196:197], v[56:57], s[10:11], v[37:38]
	v_add_f64 v[17:18], v[17:18], v[70:71]
	v_fma_f64 v[200:201], v[56:57], s[12:13], v[37:38]
	v_fma_f64 v[198:199], v[58:59], s[12:13], v[49:50]
	v_add_f64 v[19:20], v[19:20], v[104:105]
	v_fma_f64 v[202:203], v[58:59], s[10:11], v[49:50]
	ds_store_b128 v182, v[168:171] offset:10880
	ds_store_b128 v182, v[172:175] offset:11968
	;; [unrolled: 1-line block ×5, first 2 shown]
	s_waitcnt lgkmcnt(0)
	s_barrier
	buffer_gl0_inv
	s_clause 0x1
	global_load_b128 v[169:172], v4, s[2:3] offset:3232
	global_load_b128 v[165:168], v4, s[2:3] offset:3248
	ds_load_b128 v[0:3], v53 offset:3264
	ds_load_b128 v[5:8], v53 offset:2176
	s_mov_b32 s12, 0x134454ff
	s_mov_b32 s13, 0x3fee6f0e
	;; [unrolled: 1-line block ×4, first 2 shown]
	v_lshl_add_u32 v173, v234, 4, v52
	s_waitcnt vmcnt(1) lgkmcnt(1)
	v_mul_f64 v[9:10], v[2:3], v[171:172]
	v_mul_f64 v[11:12], v[0:1], v[171:172]
	s_delay_alu instid0(VALU_DEP_2) | instskip(NEXT) | instid1(VALU_DEP_2)
	v_fma_f64 v[25:26], v[0:1], v[169:170], -v[9:10]
	v_fma_f64 v[27:28], v[2:3], v[169:170], v[11:12]
	ds_load_b128 v[0:3], v53 offset:6528
	ds_load_b128 v[9:12], v53 offset:7616
	s_clause 0x1
	global_load_b128 v[200:203], v4, s[2:3] offset:3264
	global_load_b128 v[196:199], v4, s[2:3] offset:3280
	v_lshlrev_b32_e32 v4, 6, v40
	s_waitcnt vmcnt(2) lgkmcnt(1)
	v_mul_f64 v[13:14], v[2:3], v[167:168]
	s_delay_alu instid0(VALU_DEP_1) | instskip(SKIP_1) | instid1(VALU_DEP_1)
	v_fma_f64 v[29:30], v[0:1], v[165:166], -v[13:14]
	v_mul_f64 v[0:1], v[0:1], v[167:168]
	v_fma_f64 v[31:32], v[2:3], v[165:166], v[0:1]
	ds_load_b128 v[0:3], v53 offset:9792
	ds_load_b128 v[13:16], v53 offset:8704
	s_waitcnt vmcnt(1) lgkmcnt(1)
	v_mul_f64 v[17:18], v[2:3], v[202:203]
	s_delay_alu instid0(VALU_DEP_1) | instskip(SKIP_1) | instid1(VALU_DEP_2)
	v_fma_f64 v[33:34], v[0:1], v[200:201], -v[17:18]
	v_mul_f64 v[0:1], v[0:1], v[202:203]
	v_add_f64 v[249:250], v[29:30], -v[33:34]
	s_delay_alu instid0(VALU_DEP_2)
	v_fma_f64 v[35:36], v[2:3], v[200:201], v[0:1]
	ds_load_b128 v[0:3], v53 offset:13056
	ds_load_b128 v[17:20], v53 offset:14144
	s_clause 0x1
	global_load_b128 v[43:46], v4, s[2:3] offset:3232
	global_load_b128 v[47:50], v4, s[2:3] offset:3248
	s_waitcnt vmcnt(2) lgkmcnt(1)
	v_mul_f64 v[21:22], v[2:3], v[198:199]
	s_delay_alu instid0(VALU_DEP_1) | instskip(SKIP_1) | instid1(VALU_DEP_2)
	v_fma_f64 v[37:38], v[0:1], v[196:197], -v[21:22]
	v_mul_f64 v[0:1], v[0:1], v[198:199]
	v_add_f64 v[247:248], v[25:26], -v[37:38]
	s_delay_alu instid0(VALU_DEP_2)
	v_fma_f64 v[41:42], v[2:3], v[196:197], v[0:1]
	ds_load_b128 v[0:3], v53 offset:4352
	ds_load_b128 v[21:24], v53 offset:5440
	v_add_f64 v[242:243], v[27:28], -v[41:42]
	s_waitcnt vmcnt(1)
	scratch_store_b128 off, v[43:46], off offset:388 ; 16-byte Folded Spill
	s_waitcnt vmcnt(0)
	scratch_store_b128 off, v[47:50], off offset:372 ; 16-byte Folded Spill
	s_clause 0x1
	global_load_b128 v[56:59], v4, s[2:3] offset:3264
	global_load_b128 v[60:63], v4, s[2:3] offset:3280
	s_waitcnt lgkmcnt(1)
	v_mul_f64 v[39:40], v[2:3], v[45:46]
	s_delay_alu instid0(VALU_DEP_1) | instskip(SKIP_1) | instid1(VALU_DEP_1)
	v_fma_f64 v[39:40], v[0:1], v[43:44], -v[39:40]
	v_mul_f64 v[0:1], v[0:1], v[45:46]
	v_fma_f64 v[43:44], v[2:3], v[43:44], v[0:1]
	v_mul_f64 v[0:1], v[11:12], v[49:50]
	s_delay_alu instid0(VALU_DEP_1) | instskip(SKIP_1) | instid1(VALU_DEP_1)
	v_fma_f64 v[45:46], v[9:10], v[47:48], -v[0:1]
	v_mul_f64 v[0:1], v[9:10], v[49:50]
	v_fma_f64 v[47:48], v[11:12], v[47:48], v[0:1]
	ds_load_b128 v[0:3], v53 offset:10880
	ds_load_b128 v[9:12], v53 offset:11968
	s_waitcnt vmcnt(1) lgkmcnt(1)
	v_mul_f64 v[49:50], v[2:3], v[58:59]
	scratch_store_b128 off, v[56:59], off offset:420 ; 16-byte Folded Spill
	s_waitcnt vmcnt(0)
	scratch_store_b128 off, v[60:63], off offset:404 ; 16-byte Folded Spill
	v_fma_f64 v[49:50], v[0:1], v[56:57], -v[49:50]
	v_mul_f64 v[0:1], v[0:1], v[58:59]
	s_delay_alu instid0(VALU_DEP_1) | instskip(SKIP_3) | instid1(VALU_DEP_3)
	v_fma_f64 v[56:57], v[2:3], v[56:57], v[0:1]
	v_mul_f64 v[0:1], v[19:20], v[62:63]
	v_lshlrev_b32_e32 v2, 6, v245
	v_add_f64 v[245:246], v[31:32], -v[35:36]
	v_fma_f64 v[58:59], v[17:18], v[60:61], -v[0:1]
	v_mul_f64 v[0:1], v[17:18], v[62:63]
	s_delay_alu instid0(VALU_DEP_1)
	v_fma_f64 v[60:61], v[19:20], v[60:61], v[0:1]
	s_clause 0x1
	global_load_b128 v[17:20], v2, s[2:3] offset:3232
	global_load_b128 v[68:71], v2, s[2:3] offset:3248
	s_waitcnt vmcnt(1)
	v_mul_f64 v[0:1], v[23:24], v[19:20]
	scratch_store_b128 off, v[17:20], off offset:436 ; 16-byte Folded Spill
	s_waitcnt vmcnt(0)
	scratch_store_b128 off, v[68:71], off offset:452 ; 16-byte Folded Spill
	v_fma_f64 v[62:63], v[21:22], v[17:18], -v[0:1]
	v_mul_f64 v[0:1], v[21:22], v[19:20]
	s_delay_alu instid0(VALU_DEP_1) | instskip(SKIP_1) | instid1(VALU_DEP_1)
	v_fma_f64 v[64:65], v[23:24], v[17:18], v[0:1]
	v_mul_f64 v[0:1], v[15:16], v[70:71]
	v_fma_f64 v[66:67], v[13:14], v[68:69], -v[0:1]
	v_mul_f64 v[0:1], v[13:14], v[70:71]
	s_delay_alu instid0(VALU_DEP_1)
	v_fma_f64 v[68:69], v[15:16], v[68:69], v[0:1]
	s_clause 0x1
	global_load_b128 v[17:20], v2, s[2:3] offset:3264
	global_load_b128 v[13:16], v2, s[2:3] offset:3280
	s_mov_b32 s2, 0x4755a5e
	s_mov_b32 s3, 0x3fe2cf23
	;; [unrolled: 1-line block ×3, first 2 shown]
	s_waitcnt vmcnt(1) lgkmcnt(0)
	v_mul_f64 v[0:1], v[11:12], v[19:20]
	scratch_store_b128 off, v[17:20], off offset:484 ; 16-byte Folded Spill
	s_waitcnt vmcnt(0)
	scratch_store_b128 off, v[13:16], off offset:468 ; 16-byte Folded Spill
	v_fma_f64 v[70:71], v[9:10], v[17:18], -v[0:1]
	v_mul_f64 v[0:1], v[9:10], v[19:20]
	s_delay_alu instid0(VALU_DEP_2) | instskip(NEXT) | instid1(VALU_DEP_2)
	v_add_f64 v[251:252], v[66:67], -v[70:71]
	v_fma_f64 v[104:105], v[11:12], v[17:18], v[0:1]
	ds_load_b128 v[0:3], v53 offset:15232
	s_waitcnt lgkmcnt(0)
	v_mul_f64 v[9:10], v[2:3], v[15:16]
	s_delay_alu instid0(VALU_DEP_1) | instskip(SKIP_1) | instid1(VALU_DEP_2)
	v_fma_f64 v[106:107], v[0:1], v[13:14], -v[9:10]
	v_mul_f64 v[0:1], v[0:1], v[15:16]
	v_add_f64 v[253:254], v[62:63], -v[106:107]
	s_delay_alu instid0(VALU_DEP_2) | instskip(SKIP_3) | instid1(VALU_DEP_2)
	v_fma_f64 v[240:241], v[2:3], v[13:14], v[0:1]
	v_add_f64 v[0:1], v[25:26], -v[29:30]
	v_add_f64 v[2:3], v[37:38], -v[33:34]
	v_add_f64 v[13:14], v[29:30], v[33:34]
	v_add_f64 v[17:18], v[0:1], v[2:3]
	v_add_f64 v[0:1], v[27:28], -v[31:32]
	v_add_f64 v[2:3], v[41:42], -v[35:36]
	s_delay_alu instid0(VALU_DEP_1)
	v_add_f64 v[19:20], v[0:1], v[2:3]
	ds_load_b128 v[0:3], v53
	ds_load_b128 v[9:12], v53 offset:1088
	s_waitcnt lgkmcnt(1)
	v_fma_f64 v[21:22], v[13:14], -0.5, v[0:1]
	v_add_f64 v[13:14], v[31:32], v[35:36]
	s_delay_alu instid0(VALU_DEP_1) | instskip(NEXT) | instid1(VALU_DEP_3)
	v_fma_f64 v[23:24], v[13:14], -0.5, v[2:3]
	v_fma_f64 v[13:14], v[242:243], s[12:13], v[21:22]
	v_fma_f64 v[21:22], v[242:243], s[14:15], v[21:22]
	s_delay_alu instid0(VALU_DEP_3) | instskip(NEXT) | instid1(VALU_DEP_3)
	v_fma_f64 v[15:16], v[247:248], s[14:15], v[23:24]
	v_fma_f64 v[13:14], v[245:246], s[2:3], v[13:14]
	;; [unrolled: 1-line block ×3, first 2 shown]
	s_delay_alu instid0(VALU_DEP_4) | instskip(NEXT) | instid1(VALU_DEP_4)
	v_fma_f64 v[21:22], v[245:246], s[10:11], v[21:22]
	v_fma_f64 v[15:16], v[249:250], s[10:11], v[15:16]
	s_delay_alu instid0(VALU_DEP_4) | instskip(NEXT) | instid1(VALU_DEP_4)
	v_fma_f64 v[13:14], v[17:18], s[16:17], v[13:14]
	v_fma_f64 v[23:24], v[249:250], s[2:3], v[23:24]
	s_delay_alu instid0(VALU_DEP_4) | instskip(SKIP_2) | instid1(VALU_DEP_4)
	v_fma_f64 v[17:18], v[17:18], s[16:17], v[21:22]
	v_add_f64 v[21:22], v[25:26], v[37:38]
	v_fma_f64 v[15:16], v[19:20], s[16:17], v[15:16]
	v_fma_f64 v[19:20], v[19:20], s[16:17], v[23:24]
	v_add_f64 v[23:24], v[27:28], v[41:42]
	s_delay_alu instid0(VALU_DEP_4) | instskip(SKIP_2) | instid1(VALU_DEP_4)
	v_fma_f64 v[21:22], v[21:22], -0.5, v[0:1]
	v_add_f64 v[0:1], v[0:1], v[25:26]
	v_add_f64 v[25:26], v[29:30], -v[25:26]
	v_fma_f64 v[23:24], v[23:24], -0.5, v[2:3]
	v_add_f64 v[2:3], v[2:3], v[27:28]
	s_delay_alu instid0(VALU_DEP_4) | instskip(SKIP_2) | instid1(VALU_DEP_4)
	v_add_f64 v[0:1], v[0:1], v[29:30]
	v_add_f64 v[27:28], v[31:32], -v[27:28]
	v_add_f64 v[29:30], v[33:34], -v[37:38]
	v_add_f64 v[2:3], v[2:3], v[31:32]
	s_delay_alu instid0(VALU_DEP_4)
	v_add_f64 v[0:1], v[0:1], v[33:34]
	v_add_f64 v[31:32], v[35:36], -v[41:42]
	v_fma_f64 v[33:34], v[245:246], s[14:15], v[21:22]
	v_fma_f64 v[21:22], v[245:246], s[12:13], v[21:22]
	v_add_f64 v[25:26], v[25:26], v[29:30]
	v_add_f64 v[245:246], v[47:48], -v[56:57]
	v_add_f64 v[2:3], v[2:3], v[35:36]
	v_fma_f64 v[35:36], v[249:250], s[12:13], v[23:24]
	v_add_f64 v[27:28], v[27:28], v[31:32]
	v_fma_f64 v[29:30], v[242:243], s[2:3], v[33:34]
	v_fma_f64 v[31:32], v[242:243], s[10:11], v[21:22]
	;; [unrolled: 1-line block ×3, first 2 shown]
	v_add_f64 v[0:1], v[0:1], v[37:38]
	v_add_f64 v[242:243], v[43:44], -v[60:61]
	v_add_f64 v[249:250], v[45:46], -v[49:50]
	v_add_f64 v[2:3], v[2:3], v[41:42]
	v_fma_f64 v[33:34], v[247:248], s[10:11], v[35:36]
	v_fma_f64 v[21:22], v[25:26], s[16:17], v[29:30]
	;; [unrolled: 1-line block ×3, first 2 shown]
	v_add_f64 v[29:30], v[39:40], -v[45:46]
	v_add_f64 v[31:32], v[58:59], -v[49:50]
	v_fma_f64 v[35:36], v[247:248], s[2:3], v[23:24]
	v_add_f64 v[247:248], v[39:40], -v[58:59]
	v_fma_f64 v[23:24], v[27:28], s[16:17], v[33:34]
	ds_store_b128 v53, v[13:16] offset:3264
	ds_store_b128 v53, v[21:24] offset:6528
	v_add_f64 v[33:34], v[29:30], v[31:32]
	v_add_f64 v[29:30], v[43:44], -v[47:48]
	v_add_f64 v[31:32], v[60:61], -v[56:57]
	v_fma_f64 v[27:28], v[27:28], s[16:17], v[35:36]
	s_delay_alu instid0(VALU_DEP_2) | instskip(SKIP_2) | instid1(VALU_DEP_1)
	v_add_f64 v[35:36], v[29:30], v[31:32]
	v_add_f64 v[29:30], v[45:46], v[49:50]
	s_waitcnt lgkmcnt(2)
	v_fma_f64 v[37:38], v[29:30], -0.5, v[9:10]
	v_add_f64 v[29:30], v[47:48], v[56:57]
	s_delay_alu instid0(VALU_DEP_1) | instskip(NEXT) | instid1(VALU_DEP_3)
	v_fma_f64 v[41:42], v[29:30], -0.5, v[11:12]
	v_fma_f64 v[29:30], v[242:243], s[12:13], v[37:38]
	v_fma_f64 v[37:38], v[242:243], s[14:15], v[37:38]
	s_delay_alu instid0(VALU_DEP_3) | instskip(NEXT) | instid1(VALU_DEP_3)
	v_fma_f64 v[31:32], v[247:248], s[14:15], v[41:42]
	v_fma_f64 v[29:30], v[245:246], s[2:3], v[29:30]
	v_fma_f64 v[41:42], v[247:248], s[12:13], v[41:42]
	s_delay_alu instid0(VALU_DEP_4) | instskip(NEXT) | instid1(VALU_DEP_4)
	v_fma_f64 v[37:38], v[245:246], s[10:11], v[37:38]
	v_fma_f64 v[31:32], v[249:250], s[10:11], v[31:32]
	s_delay_alu instid0(VALU_DEP_4) | instskip(NEXT) | instid1(VALU_DEP_4)
	v_fma_f64 v[29:30], v[33:34], s[16:17], v[29:30]
	v_fma_f64 v[41:42], v[249:250], s[2:3], v[41:42]
	s_delay_alu instid0(VALU_DEP_4) | instskip(SKIP_2) | instid1(VALU_DEP_4)
	v_fma_f64 v[33:34], v[33:34], s[16:17], v[37:38]
	v_add_f64 v[37:38], v[39:40], v[58:59]
	v_fma_f64 v[31:32], v[35:36], s[16:17], v[31:32]
	v_fma_f64 v[35:36], v[35:36], s[16:17], v[41:42]
	v_add_f64 v[41:42], v[43:44], v[60:61]
	s_delay_alu instid0(VALU_DEP_4) | instskip(SKIP_2) | instid1(VALU_DEP_4)
	v_fma_f64 v[37:38], v[37:38], -0.5, v[9:10]
	v_add_f64 v[9:10], v[9:10], v[39:40]
	v_add_f64 v[39:40], v[45:46], -v[39:40]
	v_fma_f64 v[41:42], v[41:42], -0.5, v[11:12]
	v_add_f64 v[11:12], v[11:12], v[43:44]
	s_delay_alu instid0(VALU_DEP_4) | instskip(SKIP_2) | instid1(VALU_DEP_4)
	v_add_f64 v[9:10], v[9:10], v[45:46]
	v_add_f64 v[43:44], v[47:48], -v[43:44]
	v_add_f64 v[45:46], v[49:50], -v[58:59]
	v_add_f64 v[11:12], v[11:12], v[47:48]
	s_delay_alu instid0(VALU_DEP_4)
	v_add_f64 v[9:10], v[9:10], v[49:50]
	v_add_f64 v[47:48], v[56:57], -v[60:61]
	v_fma_f64 v[49:50], v[245:246], s[14:15], v[37:38]
	v_fma_f64 v[37:38], v[245:246], s[12:13], v[37:38]
	v_add_f64 v[45:46], v[39:40], v[45:46]
	v_add_f64 v[11:12], v[11:12], v[56:57]
	v_fma_f64 v[56:57], v[249:250], s[12:13], v[41:42]
	v_fma_f64 v[41:42], v[249:250], s[14:15], v[41:42]
	v_add_f64 v[43:44], v[43:44], v[47:48]
	v_fma_f64 v[39:40], v[242:243], s[2:3], v[49:50]
	v_fma_f64 v[47:48], v[242:243], s[10:11], v[37:38]
	v_add_f64 v[9:10], v[9:10], v[58:59]
	v_add_f64 v[242:243], v[68:69], -v[104:105]
	v_add_f64 v[249:250], v[64:65], -v[240:241]
	v_add_f64 v[11:12], v[11:12], v[60:61]
	v_fma_f64 v[49:50], v[247:248], s[10:11], v[56:57]
	v_fma_f64 v[56:57], v[247:248], s[2:3], v[41:42]
	;; [unrolled: 1-line block ×4, first 2 shown]
	v_add_f64 v[45:46], v[66:67], -v[62:63]
	v_add_f64 v[47:48], v[70:71], -v[106:107]
	v_fma_f64 v[39:40], v[43:44], s[16:17], v[49:50]
	v_fma_f64 v[43:44], v[43:44], s[16:17], v[56:57]
	s_delay_alu instid0(VALU_DEP_3) | instskip(SKIP_2) | instid1(VALU_DEP_1)
	v_add_f64 v[49:50], v[45:46], v[47:48]
	v_add_f64 v[45:46], v[68:69], -v[64:65]
	v_add_f64 v[47:48], v[104:105], -v[240:241]
	v_add_f64 v[56:57], v[45:46], v[47:48]
	v_add_f64 v[45:46], v[62:63], v[106:107]
	s_delay_alu instid0(VALU_DEP_1) | instskip(SKIP_1) | instid1(VALU_DEP_1)
	v_fma_f64 v[58:59], v[45:46], -0.5, v[5:6]
	v_add_f64 v[45:46], v[64:65], v[240:241]
	v_fma_f64 v[60:61], v[45:46], -0.5, v[7:8]
	s_delay_alu instid0(VALU_DEP_3) | instskip(SKIP_1) | instid1(VALU_DEP_3)
	v_fma_f64 v[45:46], v[242:243], s[14:15], v[58:59]
	v_fma_f64 v[58:59], v[242:243], s[12:13], v[58:59]
	;; [unrolled: 1-line block ×4, first 2 shown]
	s_delay_alu instid0(VALU_DEP_4) | instskip(NEXT) | instid1(VALU_DEP_4)
	v_fma_f64 v[45:46], v[249:250], s[2:3], v[45:46]
	v_fma_f64 v[58:59], v[249:250], s[10:11], v[58:59]
	s_delay_alu instid0(VALU_DEP_4) | instskip(NEXT) | instid1(VALU_DEP_4)
	v_fma_f64 v[47:48], v[253:254], s[10:11], v[47:48]
	v_fma_f64 v[60:61], v[253:254], s[2:3], v[60:61]
	;; [unrolled: 3-line block ×3, first 2 shown]
	v_add_f64 v[49:50], v[66:67], v[70:71]
	v_add_f64 v[58:59], v[62:63], -v[66:67]
	v_fma_f64 v[47:48], v[56:57], s[16:17], v[47:48]
	v_fma_f64 v[247:248], v[56:57], s[16:17], v[60:61]
	v_add_f64 v[56:57], v[68:69], v[104:105]
	v_add_f64 v[60:61], v[64:65], -v[68:69]
	v_fma_f64 v[49:50], v[49:50], -0.5, v[5:6]
	v_add_f64 v[4:5], v[5:6], v[62:63]
	v_add_f64 v[62:63], v[106:107], -v[70:71]
	v_fma_f64 v[56:57], v[56:57], -0.5, v[7:8]
	v_add_f64 v[6:7], v[7:8], v[64:65]
	v_add_f64 v[64:65], v[240:241], -v[104:105]
	v_add_f64 v[4:5], v[4:5], v[66:67]
	v_fma_f64 v[66:67], v[249:250], s[12:13], v[49:50]
	v_fma_f64 v[49:50], v[249:250], s[14:15], v[49:50]
	v_add_f64 v[58:59], v[58:59], v[62:63]
	v_add_f64 v[6:7], v[6:7], v[68:69]
	v_fma_f64 v[68:69], v[253:254], s[14:15], v[56:57]
	v_fma_f64 v[56:57], v[253:254], s[12:13], v[56:57]
	v_add_f64 v[60:61], v[60:61], v[64:65]
	v_fma_f64 v[49:50], v[242:243], s[10:11], v[49:50]
	v_add_f64 v[4:5], v[4:5], v[70:71]
	;; [unrolled: 2-line block ×3, first 2 shown]
	v_fma_f64 v[64:65], v[251:252], s[10:11], v[68:69]
	v_fma_f64 v[56:57], v[251:252], s[2:3], v[56:57]
	v_add_f64 v[4:5], v[4:5], v[106:107]
	v_fma_f64 v[249:250], v[58:59], s[16:17], v[62:63]
	v_add_f64 v[6:7], v[6:7], v[240:241]
	v_fma_f64 v[240:241], v[58:59], s[16:17], v[49:50]
	v_fma_f64 v[242:243], v[60:61], s[16:17], v[56:57]
	;; [unrolled: 1-line block ×3, first 2 shown]
	ds_store_b128 v173, v[25:28] offset:9792
	ds_store_b128 v173, v[17:20] offset:13056
	ds_store_b128 v53, v[0:3]
	ds_store_b128 v53, v[9:12] offset:1088
	ds_store_b128 v53, v[29:32] offset:4352
	;; [unrolled: 1-line block ×9, first 2 shown]
	v_add_co_u32 v56, s1, 0x7000, v55
	s_delay_alu instid0(VALU_DEP_1)
	v_add_co_ci_u32_e64 v57, s1, 0, v244, s1
	v_add_co_u32 v62, s1, 0x5000, v55
	ds_store_b128 v53, v[240:243] offset:15232
	s_waitcnt lgkmcnt(0)
	s_waitcnt_vscnt null, 0x0
	s_barrier
	buffer_gl0_inv
	scratch_load_b64 v[0:1], off, off       ; 8-byte Folded Reload
	v_add_co_ci_u32_e64 v63, s1, 0, v244, s1
	v_add_co_u32 v48, s1, 0x6000, v55
	s_delay_alu instid0(VALU_DEP_1)
	v_add_co_ci_u32_e64 v49, s1, 0, v244, s1
	s_waitcnt vmcnt(0)
	global_load_b128 v[0:3], v[0:1], off offset:4032
	ds_load_b128 v[4:7], v53
	ds_load_b128 v[8:11], v53 offset:1088
	ds_load_b128 v[20:23], v53 offset:8160
	;; [unrolled: 1-line block ×3, first 2 shown]
	s_clause 0x1
	global_load_b128 v[12:15], v[56:57], off offset:2336
	global_load_b128 v[24:27], v[48:49], off offset:992
	s_waitcnt vmcnt(2) lgkmcnt(3)
	v_mul_f64 v[16:17], v[6:7], v[2:3]
	v_mul_f64 v[18:19], v[4:5], v[2:3]
	s_delay_alu instid0(VALU_DEP_2) | instskip(NEXT) | instid1(VALU_DEP_2)
	v_fma_f64 v[2:3], v[4:5], v[0:1], -v[16:17]
	v_fma_f64 v[4:5], v[6:7], v[0:1], v[18:19]
	global_load_b128 v[16:19], v[62:63], off offset:4000
	s_waitcnt vmcnt(0) lgkmcnt(1)
	v_mul_f64 v[0:1], v[22:23], v[18:19]
	v_mul_f64 v[6:7], v[20:21], v[18:19]
	s_delay_alu instid0(VALU_DEP_2) | instskip(SKIP_1) | instid1(VALU_DEP_1)
	v_fma_f64 v[18:19], v[20:21], v[16:17], -v[0:1]
	v_add_co_u32 v0, s1, 0x3fc0, v55
	v_add_co_ci_u32_e64 v1, s1, 0, v244, s1
	s_clause 0x1
	global_load_b128 v[32:35], v[0:1], off offset:1088
	global_load_b128 v[36:39], v[0:1], off offset:2176
	v_fma_f64 v[20:21], v[22:23], v[16:17], v[6:7]
	s_waitcnt vmcnt(1)
	v_mul_f64 v[6:7], v[10:11], v[34:35]
	v_mul_f64 v[16:17], v[8:9], v[34:35]
	s_delay_alu instid0(VALU_DEP_2) | instskip(NEXT) | instid1(VALU_DEP_2)
	v_fma_f64 v[6:7], v[8:9], v[32:33], -v[6:7]
	v_fma_f64 v[8:9], v[10:11], v[32:33], v[16:17]
	ds_load_b128 v[32:35], v53 offset:9248
	ds_load_b128 v[40:43], v53 offset:10336
	s_waitcnt lgkmcnt(1)
	v_mul_f64 v[10:11], v[34:35], v[26:27]
	v_mul_f64 v[16:17], v[32:33], v[26:27]
	s_delay_alu instid0(VALU_DEP_2) | instskip(NEXT) | instid1(VALU_DEP_2)
	v_fma_f64 v[22:23], v[32:33], v[24:25], -v[10:11]
	v_fma_f64 v[24:25], v[34:35], v[24:25], v[16:17]
	ds_load_b128 v[32:35], v53 offset:2176
	ds_load_b128 v[44:47], v53 offset:3264
	s_waitcnt vmcnt(0) lgkmcnt(1)
	v_mul_f64 v[10:11], v[34:35], v[38:39]
	v_mul_f64 v[16:17], v[32:33], v[38:39]
	s_delay_alu instid0(VALU_DEP_2) | instskip(NEXT) | instid1(VALU_DEP_2)
	v_fma_f64 v[32:33], v[32:33], v[36:37], -v[10:11]
	v_fma_f64 v[34:35], v[34:35], v[36:37], v[16:17]
	s_clause 0x3
	global_load_b128 v[36:39], v[48:49], off offset:2080
	global_load_b128 v[48:51], v[48:49], off offset:3168
	;; [unrolled: 1-line block ×4, first 2 shown]
	s_waitcnt vmcnt(3)
	v_mul_f64 v[10:11], v[42:43], v[38:39]
	v_mul_f64 v[16:17], v[40:41], v[38:39]
	s_delay_alu instid0(VALU_DEP_2) | instskip(NEXT) | instid1(VALU_DEP_2)
	v_fma_f64 v[38:39], v[40:41], v[36:37], -v[10:11]
	v_fma_f64 v[40:41], v[42:43], v[36:37], v[16:17]
	s_waitcnt vmcnt(1) lgkmcnt(0)
	v_mul_f64 v[10:11], v[46:47], v[246:247]
	v_mul_f64 v[16:17], v[44:45], v[246:247]
	s_delay_alu instid0(VALU_DEP_2) | instskip(NEXT) | instid1(VALU_DEP_2)
	v_fma_f64 v[42:43], v[44:45], v[244:245], -v[10:11]
	v_fma_f64 v[44:45], v[46:47], v[244:245], v[16:17]
	ds_load_b128 v[244:247], v53 offset:11424
	ds_load_b128 v[252:255], v53 offset:12512
	s_waitcnt lgkmcnt(1)
	v_mul_f64 v[10:11], v[246:247], v[50:51]
	v_mul_f64 v[16:17], v[244:245], v[50:51]
	s_delay_alu instid0(VALU_DEP_2) | instskip(NEXT) | instid1(VALU_DEP_2)
	v_fma_f64 v[46:47], v[244:245], v[48:49], -v[10:11]
	v_fma_f64 v[48:49], v[246:247], v[48:49], v[16:17]
	ds_load_b128 v[244:247], v53 offset:4352
	ds_load_b128 v[104:107], v53 offset:5440
	s_waitcnt vmcnt(0) lgkmcnt(1)
	v_mul_f64 v[10:11], v[246:247], v[250:251]
	v_mul_f64 v[16:17], v[244:245], v[250:251]
	s_delay_alu instid0(VALU_DEP_2) | instskip(NEXT) | instid1(VALU_DEP_2)
	v_fma_f64 v[244:245], v[244:245], v[248:249], -v[10:11]
	v_fma_f64 v[246:247], v[246:247], v[248:249], v[16:17]
	s_clause 0x3
	global_load_b128 v[248:251], v[56:57], off offset:160
	global_load_b128 v[54:57], v[56:57], off offset:1248
	;; [unrolled: 1-line block ×4, first 2 shown]
	s_waitcnt vmcnt(3)
	v_mul_f64 v[10:11], v[254:255], v[250:251]
	v_mul_f64 v[16:17], v[252:253], v[250:251]
	s_delay_alu instid0(VALU_DEP_2) | instskip(NEXT) | instid1(VALU_DEP_2)
	v_fma_f64 v[250:251], v[252:253], v[248:249], -v[10:11]
	v_fma_f64 v[252:253], v[254:255], v[248:249], v[16:17]
	s_waitcnt vmcnt(1) lgkmcnt(0)
	v_mul_f64 v[10:11], v[106:107], v[60:61]
	v_mul_f64 v[16:17], v[104:105], v[60:61]
	s_delay_alu instid0(VALU_DEP_2) | instskip(NEXT) | instid1(VALU_DEP_2)
	v_fma_f64 v[104:105], v[104:105], v[58:59], -v[10:11]
	v_fma_f64 v[106:107], v[106:107], v[58:59], v[16:17]
	ds_load_b128 v[58:61], v53 offset:13600
	ds_load_b128 v[66:69], v53 offset:14688
	s_waitcnt lgkmcnt(1)
	v_mul_f64 v[10:11], v[60:61], v[56:57]
	v_mul_f64 v[16:17], v[58:59], v[56:57]
	s_delay_alu instid0(VALU_DEP_2) | instskip(SKIP_2) | instid1(VALU_DEP_3)
	v_fma_f64 v[56:57], v[58:59], v[54:55], -v[10:11]
	s_waitcnt vmcnt(0)
	v_mul_f64 v[10:11], v[30:31], v[64:65]
	v_fma_f64 v[58:59], v[60:61], v[54:55], v[16:17]
	v_mul_f64 v[16:17], v[28:29], v[64:65]
	s_delay_alu instid0(VALU_DEP_3) | instskip(SKIP_3) | instid1(VALU_DEP_4)
	v_fma_f64 v[26:27], v[28:29], v[62:63], -v[10:11]
	s_waitcnt lgkmcnt(0)
	v_mul_f64 v[10:11], v[68:69], v[14:15]
	v_mul_f64 v[14:15], v[66:67], v[14:15]
	v_fma_f64 v[28:29], v[30:31], v[62:63], v[16:17]
	s_delay_alu instid0(VALU_DEP_3) | instskip(NEXT) | instid1(VALU_DEP_3)
	v_fma_f64 v[10:11], v[66:67], v[12:13], -v[10:11]
	v_fma_f64 v[12:13], v[68:69], v[12:13], v[14:15]
	ds_store_b128 v53, v[2:5]
	ds_store_b128 v53, v[6:9] offset:1088
	ds_store_b128 v53, v[22:25] offset:9248
	;; [unrolled: 1-line block ×13, first 2 shown]
	s_and_saveexec_b32 s2, vcc_lo
	s_cbranch_execz .LBB0_17
; %bb.16:
	v_add_co_u32 v2, s1, 0x1000, v0
	s_delay_alu instid0(VALU_DEP_1) | instskip(SKIP_1) | instid1(VALU_DEP_1)
	v_add_co_ci_u32_e64 v3, s1, 0, v1, s1
	v_add_co_u32 v4, s1, 0x3000, v0
	v_add_co_ci_u32_e64 v5, s1, 0, v1, s1
	s_clause 0x1
	global_load_b128 v[0:3], v[2:3], off offset:3520
	global_load_b128 v[4:7], v[4:5], off offset:3488
	ds_load_b128 v[8:11], v53 offset:7616
	ds_load_b128 v[12:15], v53 offset:15776
	s_waitcnt vmcnt(1) lgkmcnt(1)
	v_mul_f64 v[16:17], v[10:11], v[2:3]
	v_mul_f64 v[2:3], v[8:9], v[2:3]
	s_waitcnt vmcnt(0) lgkmcnt(0)
	v_mul_f64 v[18:19], v[14:15], v[6:7]
	v_mul_f64 v[20:21], v[12:13], v[6:7]
	s_delay_alu instid0(VALU_DEP_4) | instskip(NEXT) | instid1(VALU_DEP_4)
	v_fma_f64 v[6:7], v[8:9], v[0:1], -v[16:17]
	v_fma_f64 v[8:9], v[10:11], v[0:1], v[2:3]
	s_delay_alu instid0(VALU_DEP_4) | instskip(NEXT) | instid1(VALU_DEP_4)
	v_fma_f64 v[0:1], v[12:13], v[4:5], -v[18:19]
	v_fma_f64 v[2:3], v[14:15], v[4:5], v[20:21]
	ds_store_b128 v53, v[6:9] offset:7616
	ds_store_b128 v53, v[0:3] offset:15776
.LBB0_17:
	s_or_b32 exec_lo, exec_lo, s2
	s_waitcnt lgkmcnt(0)
	s_barrier
	buffer_gl0_inv
	ds_load_b128 v[4:7], v53
	ds_load_b128 v[8:11], v53 offset:1088
	ds_load_b128 v[16:19], v53 offset:9248
	;; [unrolled: 1-line block ×13, first 2 shown]
	s_and_saveexec_b32 s1, vcc_lo
	s_cbranch_execz .LBB0_19
; %bb.18:
	ds_load_b128 v[240:243], v173 offset:7616
	ds_load_b128 v[236:239], v173 offset:15776
.LBB0_19:
	s_or_b32 exec_lo, exec_lo, s1
	s_waitcnt lgkmcnt(3)
	v_add_f64 v[24:25], v[4:5], -v[24:25]
	s_waitcnt lgkmcnt(1)
	v_add_f64 v[12:13], v[44:45], -v[12:13]
	v_add_f64 v[248:249], v[28:29], -v[40:41]
	s_waitcnt lgkmcnt(0)
	v_add_f64 v[40:41], v[240:241], -v[236:237]
	s_barrier
	buffer_gl0_inv
	v_add_f64 v[26:27], v[6:7], -v[26:27]
	v_add_f64 v[250:251], v[30:31], -v[42:43]
	;; [unrolled: 1-line block ×12, first 2 shown]
	v_fma_f64 v[236:237], v[4:5], 2.0, -v[24:25]
	v_fma_f64 v[4:5], v[44:45], 2.0, -v[12:13]
	scratch_load_b32 v44, off, off offset:252 ; 4-byte Folded Reload
	v_fma_f64 v[240:241], v[240:241], 2.0, -v[40:41]
	v_fma_f64 v[238:239], v[6:7], 2.0, -v[26:27]
	s_waitcnt vmcnt(0)
	ds_store_b128 v44, v[24:27] offset:16
	ds_store_b128 v44, v[236:239]
	scratch_load_b32 v44, off, off offset:260 ; 4-byte Folded Reload
	v_fma_f64 v[36:37], v[8:9], 2.0, -v[16:17]
	v_fma_f64 v[38:39], v[10:11], 2.0, -v[18:19]
	;; [unrolled: 1-line block ×12, first 2 shown]
	s_waitcnt vmcnt(0)
	ds_store_b128 v44, v[36:39]
	ds_store_b128 v44, v[16:19] offset:16
	scratch_load_b32 v44, off, off offset:268 ; 4-byte Folded Reload
	s_waitcnt vmcnt(0)
	ds_store_b128 v44, v[20:23]
	ds_store_b128 v44, v[0:3] offset:16
	scratch_load_b32 v44, off, off offset:276 ; 4-byte Folded Reload
	;; [unrolled: 4-line block ×5, first 2 shown]
	s_waitcnt vmcnt(0)
	ds_store_b128 v44, v[28:31]
	ds_store_b128 v44, v[32:35] offset:16
	s_and_saveexec_b32 s1, vcc_lo
	s_cbranch_execz .LBB0_21
; %bb.20:
	scratch_load_b32 v44, off, off offset:500 ; 4-byte Folded Reload
	s_waitcnt vmcnt(0)
	ds_store_b128 v44, v[240:243]
	ds_store_b128 v44, v[40:43] offset:16
.LBB0_21:
	s_or_b32 exec_lo, exec_lo, s1
	s_waitcnt lgkmcnt(0)
	s_barrier
	buffer_gl0_inv
	s_and_saveexec_b32 s1, s0
	s_cbranch_execz .LBB0_23
; %bb.22:
	ds_load_b128 v[236:239], v53
	ds_load_b128 v[24:27], v53 offset:960
	ds_load_b128 v[36:39], v53 offset:1920
	;; [unrolled: 1-line block ×16, first 2 shown]
.LBB0_23:
	s_or_b32 exec_lo, exec_lo, s1
	s_waitcnt lgkmcnt(15)
	v_mul_f64 v[44:45], v[142:143], v[24:25]
	s_mov_b32 s22, 0x2a9d6da3
	s_mov_b32 s23, 0xbfe58eea
	;; [unrolled: 1-line block ×37, first 2 shown]
	v_fma_f64 v[50:51], v[140:141], v[26:27], -v[44:45]
	v_mul_f64 v[26:27], v[142:143], v[26:27]
	s_mov_b32 s25, 0x3fedd6d0
	s_mov_b32 s51, 0x3fe58eea
	;; [unrolled: 1-line block ×4, first 2 shown]
	s_delay_alu instid0(VALU_DEP_1) | instskip(SKIP_2) | instid1(VALU_DEP_1)
	v_fma_f64 v[26:27], v[140:141], v[24:25], v[26:27]
	s_waitcnt lgkmcnt(0)
	v_mul_f64 v[24:25], v[114:115], v[184:185]
	v_fma_f64 v[44:45], v[112:113], v[186:187], -v[24:25]
	v_mul_f64 v[24:25], v[114:115], v[186:187]
	s_delay_alu instid0(VALU_DEP_1) | instskip(SKIP_1) | instid1(VALU_DEP_1)
	v_fma_f64 v[48:49], v[112:113], v[184:185], v[24:25]
	v_mul_f64 v[24:25], v[86:87], v[36:37]
	v_fma_f64 v[54:55], v[84:85], v[38:39], -v[24:25]
	v_mul_f64 v[24:25], v[86:87], v[38:39]
	s_delay_alu instid0(VALU_DEP_1) | instskip(SKIP_2) | instid1(VALU_DEP_1)
	v_fma_f64 v[58:59], v[84:85], v[36:37], v[24:25]
	scratch_load_b128 v[36:39], off, off offset:308 ; 16-byte Folded Reload
	v_mul_f64 v[24:25], v[98:99], v[40:41]
	v_fma_f64 v[56:57], v[96:97], v[42:43], -v[24:25]
	v_mul_f64 v[24:25], v[98:99], v[42:43]
	s_delay_alu instid0(VALU_DEP_1) | instskip(SKIP_1) | instid1(VALU_DEP_2)
	v_fma_f64 v[64:65], v[96:97], v[40:41], v[24:25]
	v_mul_f64 v[24:25], v[74:75], v[16:17]
	v_add_f64 v[114:115], v[58:59], -v[64:65]
	s_delay_alu instid0(VALU_DEP_2) | instskip(SKIP_1) | instid1(VALU_DEP_1)
	v_fma_f64 v[24:25], v[72:73], v[18:19], -v[24:25]
	v_mul_f64 v[18:19], v[74:75], v[18:19]
	v_fma_f64 v[70:71], v[72:73], v[16:17], v[18:19]
	v_mul_f64 v[16:17], v[82:83], v[240:241]
	v_add_f64 v[72:73], v[58:59], v[64:65]
	s_delay_alu instid0(VALU_DEP_2) | instskip(SKIP_1) | instid1(VALU_DEP_2)
	v_fma_f64 v[66:67], v[80:81], v[242:243], -v[16:17]
	v_mul_f64 v[16:17], v[82:83], v[242:243]
	v_add_f64 v[96:97], v[24:25], v[66:67]
	s_delay_alu instid0(VALU_DEP_2) | instskip(SKIP_2) | instid1(VALU_DEP_1)
	v_fma_f64 v[68:69], v[80:81], v[240:241], v[16:17]
	s_waitcnt vmcnt(0)
	v_mul_f64 v[16:17], v[38:39], v[20:21]
	v_fma_f64 v[74:75], v[36:37], v[22:23], -v[16:17]
	v_mul_f64 v[16:17], v[38:39], v[22:23]
	s_delay_alu instid0(VALU_DEP_1) | instskip(SKIP_2) | instid1(VALU_DEP_1)
	v_fma_f64 v[213:214], v[36:37], v[20:21], v[16:17]
	scratch_load_b128 v[18:21], off, off offset:324 ; 16-byte Folded Reload
	v_mul_f64 v[16:17], v[90:91], v[32:33]
	v_fma_f64 v[215:216], v[88:89], v[34:35], -v[16:17]
	v_mul_f64 v[16:17], v[90:91], v[34:35]
	s_delay_alu instid0(VALU_DEP_2) | instskip(NEXT) | instid1(VALU_DEP_2)
	v_add_f64 v[126:127], v[74:75], v[215:216]
	v_fma_f64 v[34:35], v[88:89], v[32:33], v[16:17]
	v_add_f64 v[32:33], v[74:75], -v[215:216]
	s_delay_alu instid0(VALU_DEP_2) | instskip(SKIP_2) | instid1(VALU_DEP_1)
	v_add_f64 v[80:81], v[213:214], v[34:35]
	s_waitcnt vmcnt(0)
	v_mul_f64 v[16:17], v[20:21], v[0:1]
	v_fma_f64 v[90:91], v[18:19], v[2:3], -v[16:17]
	v_mul_f64 v[2:3], v[20:21], v[2:3]
	s_delay_alu instid0(VALU_DEP_1) | instskip(SKIP_3) | instid1(VALU_DEP_2)
	v_fma_f64 v[106:107], v[18:19], v[0:1], v[2:3]
	scratch_load_b128 v[16:19], off, off offset:340 ; 16-byte Folded Reload
	v_mul_f64 v[0:1], v[110:111], v[28:29]
	v_add_f64 v[2:3], v[50:51], -v[44:45]
	v_fma_f64 v[104:105], v[108:109], v[30:31], -v[0:1]
	v_mul_f64 v[0:1], v[110:111], v[30:31]
	v_add_f64 v[110:111], v[54:55], -v[56:57]
	s_delay_alu instid0(VALU_DEP_4) | instskip(NEXT) | instid1(VALU_DEP_3)
	v_mul_f64 v[46:47], v[2:3], s[42:43]
	v_fma_f64 v[28:29], v[108:109], v[28:29], v[0:1]
	v_add_f64 v[108:109], v[90:91], v[104:105]
	s_delay_alu instid0(VALU_DEP_2) | instskip(SKIP_3) | instid1(VALU_DEP_1)
	v_add_f64 v[88:89], v[106:107], v[28:29]
	v_add_f64 v[186:187], v[106:107], -v[28:29]
	s_waitcnt vmcnt(0)
	v_mul_f64 v[0:1], v[18:19], v[8:9]
	v_fma_f64 v[30:31], v[16:17], v[10:11], -v[0:1]
	v_mul_f64 v[0:1], v[18:19], v[10:11]
	s_delay_alu instid0(VALU_DEP_1) | instskip(SKIP_1) | instid1(VALU_DEP_1)
	v_fma_f64 v[16:17], v[16:17], v[8:9], v[0:1]
	v_mul_f64 v[0:1], v[102:103], v[12:13]
	v_fma_f64 v[10:11], v[100:101], v[14:15], -v[0:1]
	v_mul_f64 v[0:1], v[102:103], v[14:15]
	s_delay_alu instid0(VALU_DEP_2) | instskip(NEXT) | instid1(VALU_DEP_2)
	v_add_f64 v[184:185], v[30:31], -v[10:11]
	v_fma_f64 v[12:13], v[100:101], v[12:13], v[0:1]
	v_mul_f64 v[0:1], v[78:79], v[248:249]
	v_add_f64 v[174:175], v[30:31], v[10:11]
	s_delay_alu instid0(VALU_DEP_3) | instskip(NEXT) | instid1(VALU_DEP_3)
	v_add_f64 v[242:243], v[16:17], -v[12:13]
	v_fma_f64 v[14:15], v[76:77], v[250:251], -v[0:1]
	v_mul_f64 v[0:1], v[78:79], v[250:251]
	v_add_f64 v[250:251], v[26:27], -v[48:49]
	s_delay_alu instid0(VALU_DEP_2) | instskip(SKIP_2) | instid1(VALU_DEP_2)
	v_fma_f64 v[140:141], v[76:77], v[248:249], v[0:1]
	v_mul_f64 v[0:1], v[118:119], v[4:5]
	v_add_f64 v[76:77], v[70:71], v[68:69]
	v_fma_f64 v[78:79], v[116:117], v[6:7], -v[0:1]
	v_mul_f64 v[0:1], v[118:119], v[6:7]
	v_mul_f64 v[6:7], v[2:3], s[22:23]
	v_add_f64 v[118:119], v[70:71], -v[68:69]
	s_delay_alu instid0(VALU_DEP_4) | instskip(NEXT) | instid1(VALU_DEP_4)
	v_add_f64 v[240:241], v[14:15], -v[78:79]
	v_fma_f64 v[36:37], v[116:117], v[4:5], v[0:1]
	v_mul_f64 v[0:1], v[94:95], v[252:253]
	v_add_f64 v[116:117], v[24:25], -v[66:67]
	v_add_f64 v[211:212], v[14:15], v[78:79]
	s_delay_alu instid0(VALU_DEP_4) | instskip(NEXT) | instid1(VALU_DEP_4)
	v_add_f64 v[98:99], v[140:141], v[36:37]
	v_fma_f64 v[82:83], v[92:93], v[254:255], -v[0:1]
	v_mul_f64 v[0:1], v[94:95], v[254:255]
	v_mul_f64 v[254:255], v[110:111], s[38:39]
	v_add_f64 v[94:95], v[16:17], v[12:13]
	scratch_store_b64 off, v[36:37], off offset:252 ; 8-byte Folded Spill
	v_fma_f64 v[112:113], v[92:93], v[252:253], v[0:1]
	v_mul_f64 v[0:1], v[122:123], v[244:245]
	v_fma_f64 v[18:19], v[72:73], s[2:3], -v[254:255]
	v_add_f64 v[92:93], v[54:55], v[56:57]
	s_delay_alu instid0(VALU_DEP_3) | instskip(SKIP_1) | instid1(VALU_DEP_3)
	v_fma_f64 v[142:143], v[120:121], v[246:247], -v[0:1]
	v_mul_f64 v[0:1], v[122:123], v[246:247]
	v_mul_f64 v[22:23], v[92:93], s[2:3]
	v_add_f64 v[122:123], v[213:214], -v[34:35]
	s_delay_alu instid0(VALU_DEP_4) | instskip(NEXT) | instid1(VALU_DEP_4)
	v_add_f64 v[246:247], v[82:83], -v[142:143]
	v_fma_f64 v[100:101], v[120:121], v[244:245], v[0:1]
	v_add_f64 v[0:1], v[26:27], v[48:49]
	scratch_store_b64 off, v[22:23], off offset:260 ; 8-byte Folded Spill
	v_fma_f64 v[22:23], v[114:115], s[38:39], v[22:23]
	v_add_f64 v[120:121], v[90:91], -v[104:105]
	v_add_f64 v[244:245], v[140:141], -v[36:37]
	v_add_f64 v[208:209], v[82:83], v[142:143]
	v_add_f64 v[102:103], v[112:113], v[100:101]
	v_fma_f64 v[4:5], v[0:1], s[10:11], -v[6:7]
	v_add_f64 v[248:249], v[112:113], -v[100:101]
	s_delay_alu instid0(VALU_DEP_2) | instskip(NEXT) | instid1(VALU_DEP_1)
	v_add_f64 v[4:5], v[236:237], v[4:5]
	v_add_f64 v[18:19], v[18:19], v[4:5]
	;; [unrolled: 1-line block ×3, first 2 shown]
	s_delay_alu instid0(VALU_DEP_1) | instskip(SKIP_1) | instid1(VALU_DEP_2)
	v_mul_f64 v[8:9], v[4:5], s[10:11]
	v_mul_f64 v[252:253], v[4:5], s[20:21]
	v_fma_f64 v[20:21], v[250:251], s[22:23], v[8:9]
	s_delay_alu instid0(VALU_DEP_1) | instskip(NEXT) | instid1(VALU_DEP_1)
	v_add_f64 v[20:21], v[238:239], v[20:21]
	v_add_f64 v[20:21], v[22:23], v[20:21]
	v_mul_f64 v[22:23], v[116:117], s[28:29]
	scratch_store_b64 off, v[22:23], off offset:268 ; 8-byte Folded Spill
	v_fma_f64 v[22:23], v[76:77], s[12:13], -v[22:23]
	s_delay_alu instid0(VALU_DEP_1) | instskip(SKIP_3) | instid1(VALU_DEP_1)
	v_add_f64 v[18:19], v[22:23], v[18:19]
	v_mul_f64 v[22:23], v[96:97], s[12:13]
	scratch_store_b64 off, v[22:23], off offset:276 ; 8-byte Folded Spill
	v_fma_f64 v[22:23], v[118:119], s[28:29], v[22:23]
	v_add_f64 v[20:21], v[22:23], v[20:21]
	v_mul_f64 v[22:23], v[32:33], s[26:27]
	scratch_store_b64 off, v[22:23], off offset:284 ; 8-byte Folded Spill
	v_fma_f64 v[22:23], v[80:81], s[14:15], -v[22:23]
	s_delay_alu instid0(VALU_DEP_1) | instskip(SKIP_3) | instid1(VALU_DEP_1)
	v_add_f64 v[18:19], v[22:23], v[18:19]
	v_mul_f64 v[22:23], v[126:127], s[14:15]
	scratch_store_b64 off, v[22:23], off offset:292 ; 8-byte Folded Spill
	v_fma_f64 v[22:23], v[122:123], s[26:27], v[22:23]
	;; [unrolled: 9-line block ×5, first 2 shown]
	v_add_f64 v[20:21], v[22:23], v[20:21]
	v_mul_f64 v[22:23], v[246:247], s[48:49]
	scratch_store_b64 off, v[22:23], off offset:508 ; 8-byte Folded Spill
	v_fma_f64 v[22:23], v[102:103], s[24:25], -v[22:23]
	s_delay_alu instid0(VALU_DEP_1)
	v_add_f64 v[84:85], v[22:23], v[18:19]
	v_mul_f64 v[18:19], v[208:209], s[24:25]
	v_mul_f64 v[22:23], v[92:93], s[12:13]
	scratch_store_b64 off, v[18:19], off offset:548 ; 8-byte Folded Spill
	v_fma_f64 v[18:19], v[248:249], s[48:49], v[18:19]
	scratch_store_b64 off, v[22:23], off offset:556 ; 8-byte Folded Spill
	v_fma_f64 v[22:23], v[114:115], s[28:29], v[22:23]
	v_add_f64 v[86:87], v[18:19], v[20:21]
	v_fma_f64 v[18:19], v[0:1], s[20:21], -v[46:47]
	v_mul_f64 v[20:21], v[110:111], s[28:29]
	s_delay_alu instid0(VALU_DEP_2) | instskip(SKIP_2) | instid1(VALU_DEP_1)
	v_add_f64 v[18:19], v[236:237], v[18:19]
	scratch_store_b64 off, v[20:21], off offset:524 ; 8-byte Folded Spill
	v_fma_f64 v[20:21], v[72:73], s[12:13], -v[20:21]
	v_add_f64 v[18:19], v[20:21], v[18:19]
	v_fma_f64 v[20:21], v[250:251], s[42:43], v[252:253]
	s_delay_alu instid0(VALU_DEP_1) | instskip(NEXT) | instid1(VALU_DEP_1)
	v_add_f64 v[20:21], v[238:239], v[20:21]
	v_add_f64 v[20:21], v[22:23], v[20:21]
	v_mul_f64 v[22:23], v[116:117], s[44:45]
	scratch_store_b64 off, v[22:23], off offset:532 ; 8-byte Folded Spill
	v_fma_f64 v[22:23], v[76:77], s[14:15], -v[22:23]
	s_delay_alu instid0(VALU_DEP_1) | instskip(SKIP_3) | instid1(VALU_DEP_1)
	v_add_f64 v[18:19], v[22:23], v[18:19]
	v_mul_f64 v[22:23], v[96:97], s[14:15]
	scratch_store_b64 off, v[22:23], off offset:564 ; 8-byte Folded Spill
	v_fma_f64 v[22:23], v[118:119], s[44:45], v[22:23]
	v_add_f64 v[20:21], v[22:23], v[20:21]
	v_mul_f64 v[22:23], v[32:33], s[30:31]
	scratch_store_b64 off, v[22:23], off offset:540 ; 8-byte Folded Spill
	v_fma_f64 v[22:23], v[80:81], s[18:19], -v[22:23]
	s_delay_alu instid0(VALU_DEP_1) | instskip(SKIP_3) | instid1(VALU_DEP_1)
	v_add_f64 v[22:23], v[22:23], v[18:19]
	v_mul_f64 v[18:19], v[126:127], s[18:19]
	scratch_store_b64 off, v[18:19], off offset:588 ; 8-byte Folded Spill
	v_fma_f64 v[18:19], v[122:123], s[30:31], v[18:19]
	v_add_f64 v[20:21], v[18:19], v[20:21]
	v_mul_f64 v[18:19], v[120:121], s[50:51]
	scratch_store_b64 off, v[18:19], off offset:572 ; 8-byte Folded Spill
	v_fma_f64 v[36:37], v[88:89], s[10:11], -v[18:19]
	v_mul_f64 v[18:19], v[108:109], s[10:11]
	s_delay_alu instid0(VALU_DEP_2) | instskip(SKIP_4) | instid1(VALU_DEP_3)
	v_add_f64 v[36:37], v[36:37], v[22:23]
	scratch_store_b64 off, v[18:19], off offset:596 ; 8-byte Folded Spill
	v_fma_f64 v[38:39], v[186:187], s[50:51], v[18:19]
	v_mul_f64 v[18:19], v[184:185], s[40:41]
	v_mul_f64 v[22:23], v[246:247], s[46:47]
	v_add_f64 v[20:21], v[38:39], v[20:21]
	s_delay_alu instid0(VALU_DEP_3)
	v_fma_f64 v[38:39], v[94:95], s[24:25], -v[18:19]
	scratch_store_b64 off, v[18:19], off offset:580 ; 8-byte Folded Spill
	v_mul_f64 v[18:19], v[240:241], s[38:39]
	s_waitcnt_vscnt null, 0x0
	s_barrier
	buffer_gl0_inv
	v_add_f64 v[36:37], v[38:39], v[36:37]
	v_mul_f64 v[38:39], v[174:175], s[24:25]
	s_delay_alu instid0(VALU_DEP_1) | instskip(NEXT) | instid1(VALU_DEP_1)
	v_fma_f64 v[40:41], v[242:243], s[40:41], v[38:39]
	v_add_f64 v[20:21], v[40:41], v[20:21]
	v_fma_f64 v[40:41], v[98:99], s[2:3], -v[18:19]
	s_delay_alu instid0(VALU_DEP_1) | instskip(SKIP_1) | instid1(VALU_DEP_1)
	v_add_f64 v[40:41], v[40:41], v[36:37]
	v_mul_f64 v[36:37], v[211:212], s[2:3]
	v_fma_f64 v[42:43], v[244:245], s[38:39], v[36:37]
	s_delay_alu instid0(VALU_DEP_1) | instskip(SKIP_1) | instid1(VALU_DEP_1)
	v_add_f64 v[42:43], v[42:43], v[20:21]
	v_fma_f64 v[20:21], v[102:103], s[16:17], -v[22:23]
	v_add_f64 v[60:61], v[20:21], v[40:41]
	v_mul_f64 v[20:21], v[208:209], s[16:17]
	s_delay_alu instid0(VALU_DEP_1) | instskip(NEXT) | instid1(VALU_DEP_1)
	v_fma_f64 v[40:41], v[248:249], s[46:47], v[20:21]
	v_add_f64 v[62:63], v[40:41], v[42:43]
	s_and_saveexec_b32 s33, s0
	s_cbranch_execz .LBB0_25
; %bb.24:
	v_mul_f64 v[40:41], v[250:251], s[42:43]
	s_clause 0x4
	scratch_store_b64 off, v[44:45], off offset:692
	scratch_store_b128 off, v[176:179], off offset:620
	scratch_store_b64 off, v[12:13], off offset:700
	scratch_store_b64 off, v[104:105], off offset:708
	scratch_store_b64 off, v[48:49], off offset:716
	v_mul_f64 v[104:105], v[250:251], s[28:29]
	s_clause 0x3
	scratch_store_b64 off, v[18:19], off offset:908
	scratch_store_b64 off, v[20:21], off offset:924
	;; [unrolled: 1-line block ×4, first 2 shown]
	s_mov_b32 s1, 0xbfeec746
	s_mov_b32 s0, s30
	scratch_store_b64 off, v[106:107], off offset:724 ; 8-byte Folded Spill
	v_mul_f64 v[106:107], v[250:251], s[38:39]
	s_clause 0x1
	scratch_store_b64 off, v[24:25], off offset:764
	scratch_store_b64 off, v[10:11], off offset:772
	v_mul_f64 v[38:39], v[2:3], s[38:39]
	s_clause 0x3
	scratch_store_b64 off, v[34:35], off offset:732
	scratch_store_b64 off, v[28:29], off offset:740
	scratch_store_b64 off, v[64:65], off offset:748
	scratch_store_b64 off, v[54:55], off offset:756
	v_mul_f64 v[34:35], v[2:3], s[40:41]
	s_clause 0x1
	scratch_store_b64 off, v[16:17], off offset:780
	scratch_store_b64 off, v[30:31], off offset:788
	s_mov_b32 s53, 0x3fefdd0d
	s_mov_b32 s52, s38
	;; [unrolled: 1-line block ×4, first 2 shown]
	v_mul_f64 v[14:15], v[186:187], s[40:41]
	v_mov_b32_e32 v210, v52
	v_mov_b32_e32 v52, v234
	v_mul_f64 v[176:177], v[240:241], s[54:55]
	v_mul_f64 v[178:179], v[248:249], s[50:51]
	;; [unrolled: 1-line block ×3, first 2 shown]
	s_clause 0x1
	scratch_store_b64 off, v[112:113], off offset:1052
	scratch_store_b64 off, v[90:91], off offset:1172
	v_mul_f64 v[112:113], v[122:123], s[54:55]
	v_add_f64 v[42:43], v[252:253], -v[40:41]
	v_mul_f64 v[40:41], v[0:1], s[20:21]
	v_mul_f64 v[252:253], v[250:251], s[40:41]
	;; [unrolled: 1-line block ×3, first 2 shown]
	scratch_store_b64 off, v[215:216], off offset:1140 ; 8-byte Folded Spill
	v_mul_f64 v[215:216], v[244:245], s[50:51]
	v_fma_f64 v[18:19], v[4:5], s[12:13], v[104:105]
	v_fma_f64 v[104:105], v[4:5], s[12:13], -v[104:105]
	scratch_store_b64 off, v[68:69], off offset:1108 ; 8-byte Folded Spill
	v_mul_f64 v[68:69], v[242:243], s[26:27]
	scratch_store_b64 off, v[70:71], off offset:1156 ; 8-byte Folded Spill
	v_mul_f64 v[70:71], v[184:185], s[26:27]
	scratch_store_b64 off, v[213:214], off offset:1164 ; 8-byte Folded Spill
	v_mov_b32_e32 v214, v101
	v_fma_f64 v[48:49], v[4:5], s[2:3], -v[106:107]
	v_fma_f64 v[106:107], v[4:5], s[2:3], v[106:107]
	v_dual_mov_b32 v213, v100 :: v_dual_mov_b32 v100, v142
	v_mov_b32_e32 v101, v143
	v_mul_f64 v[142:143], v[240:241], s[40:41]
	scratch_store_b64 off, v[66:67], off offset:1084 ; 8-byte Folded Spill
	v_mul_f64 v[66:67], v[120:121], s[40:41]
	v_fma_f64 v[10:11], v[0:1], s[24:25], -v[34:35]
	v_fma_f64 v[34:35], v[0:1], s[24:25], v[34:35]
	v_add_f64 v[44:45], v[40:41], v[46:47]
	v_mul_f64 v[40:41], v[250:251], s[22:23]
	v_mul_f64 v[46:47], v[250:251], s[46:47]
	v_fma_f64 v[24:25], v[4:5], s[24:25], v[252:253]
	v_fma_f64 v[252:253], v[4:5], s[24:25], -v[252:253]
	v_add_f64 v[18:19], v[238:239], v[18:19]
	s_clause 0x2
	scratch_store_b64 off, v[254:255], off offset:948
	scratch_store_b64 off, v[36:37], off offset:932
	;; [unrolled: 1-line block ×3, first 2 shown]
	v_mul_f64 v[22:23], v[2:3], s[28:29]
	v_mul_f64 v[36:37], v[2:3], s[46:47]
	v_add_f64 v[12:13], v[8:9], -v[40:41]
	v_mul_f64 v[40:41], v[0:1], s[10:11]
	v_fma_f64 v[54:55], v[4:5], s[16:17], v[46:47]
	v_fma_f64 v[46:47], v[4:5], s[16:17], -v[46:47]
	scratch_store_b64 off, v[18:19], off offset:820 ; 8-byte Folded Spill
	v_fma_f64 v[8:9], v[0:1], s[2:3], -v[38:39]
	v_fma_f64 v[38:39], v[0:1], s[2:3], v[38:39]
	v_fma_f64 v[30:31], v[0:1], s[12:13], -v[22:23]
	v_fma_f64 v[16:17], v[0:1], s[16:17], -v[36:37]
	v_fma_f64 v[36:37], v[0:1], s[16:17], v[36:37]
	v_fma_f64 v[22:23], v[0:1], s[12:13], v[22:23]
	v_add_f64 v[6:7], v[40:41], v[6:7]
	v_mul_f64 v[40:41], v[250:251], s[26:27]
	v_mul_f64 v[250:251], v[250:251], s[0:1]
	v_add_f64 v[54:55], v[238:239], v[54:55]
	v_add_f64 v[8:9], v[236:237], v[8:9]
	v_add_f64 v[18:19], v[236:237], v[30:31]
	v_add_f64 v[16:17], v[236:237], v[16:17]
	v_add_f64 v[30:31], v[236:237], v[6:7]
	v_fma_f64 v[254:255], v[4:5], s[14:15], v[40:41]
	v_fma_f64 v[40:41], v[4:5], s[14:15], -v[40:41]
	v_fma_f64 v[20:21], v[4:5], s[18:19], v[250:251]
	v_fma_f64 v[4:5], v[4:5], s[18:19], -v[250:251]
	v_mul_f64 v[250:251], v[2:3], s[26:27]
	v_mul_f64 v[2:3], v[2:3], s[0:1]
	scratch_store_b64 off, v[18:19], off offset:812 ; 8-byte Folded Spill
	v_add_f64 v[18:19], v[238:239], v[104:105]
	v_add_f64 v[6:7], v[238:239], v[24:25]
	scratch_store_b64 off, v[8:9], off offset:836 ; 8-byte Folded Spill
	v_add_f64 v[8:9], v[238:239], v[42:43]
	v_add_f64 v[24:25], v[236:237], v[34:35]
	v_fma_f64 v[28:29], v[0:1], s[14:15], -v[250:251]
	v_fma_f64 v[250:251], v[0:1], s[14:15], v[250:251]
	v_fma_f64 v[64:65], v[0:1], s[18:19], -v[2:3]
	v_fma_f64 v[0:1], v[0:1], s[18:19], v[2:3]
	scratch_store_b64 off, v[6:7], off offset:852 ; 8-byte Folded Spill
	v_add_f64 v[2:3], v[238:239], v[50:51]
	scratch_store_b64 off, v[18:19], off offset:884 ; 8-byte Folded Spill
	v_add_f64 v[18:19], v[236:237], v[22:23]
	v_add_f64 v[6:7], v[236:237], v[10:11]
	;; [unrolled: 1-line block ×4, first 2 shown]
	v_mul_f64 v[252:253], v[248:249], s[52:53]
	v_mul_f64 v[12:13], v[246:247], s[52:53]
	;; [unrolled: 1-line block ×3, first 2 shown]
	v_add_f64 v[28:29], v[236:237], v[28:29]
	v_add_f64 v[250:251], v[236:237], v[250:251]
	scratch_store_b64 off, v[2:3], off offset:796 ; 8-byte Folded Spill
	v_add_f64 v[2:3], v[236:237], v[26:27]
	v_add_f64 v[26:27], v[238:239], v[46:47]
	scratch_store_b64 off, v[18:19], off offset:876 ; 8-byte Folded Spill
	v_add_f64 v[18:19], v[238:239], v[106:107]
	scratch_store_b64 off, v[6:7], off offset:844 ; 8-byte Folded Spill
	v_add_f64 v[6:7], v[238:239], v[20:21]
	v_mul_f64 v[20:21], v[118:119], s[46:47]
	v_mul_f64 v[46:47], v[242:243], s[46:47]
	s_clause 0x1
	scratch_store_b64 off, v[2:3], off offset:804
	scratch_store_b64 off, v[26:27], off offset:868
	v_add_f64 v[26:27], v[236:237], v[36:37]
	scratch_store_b64 off, v[18:19], off offset:828 ; 8-byte Folded Spill
	v_add_f64 v[2:3], v[238:239], v[254:255]
	v_add_f64 v[254:255], v[238:239], v[40:41]
	scratch_store_b64 off, v[6:7], off offset:900 ; 8-byte Folded Spill
	v_add_f64 v[6:7], v[236:237], v[64:65]
	v_add_f64 v[40:41], v[236:237], v[38:39]
	;; [unrolled: 1-line block ×4, first 2 shown]
	scratch_store_b64 off, v[26:27], off offset:860 ; 8-byte Folded Spill
	v_add_f64 v[26:27], v[238:239], v[48:49]
	v_add_f64 v[238:239], v[238:239], v[4:5]
	v_mul_f64 v[4:5], v[114:115], s[48:49]
	scratch_store_b64 off, v[6:7], off offset:892 ; 8-byte Folded Spill
	v_mul_f64 v[6:7], v[110:111], s[48:49]
	v_fma_f64 v[0:1], v[92:93], s[24:25], v[4:5]
	v_fma_f64 v[4:5], v[92:93], s[24:25], -v[4:5]
	s_delay_alu instid0(VALU_DEP_2) | instskip(NEXT) | instid1(VALU_DEP_4)
	v_add_f64 v[0:1], v[0:1], v[2:3]
	v_fma_f64 v[2:3], v[72:73], s[24:25], -v[6:7]
	s_delay_alu instid0(VALU_DEP_3) | instskip(SKIP_2) | instid1(VALU_DEP_4)
	v_add_f64 v[4:5], v[4:5], v[254:255]
	v_fma_f64 v[6:7], v[72:73], s[24:25], v[6:7]
	v_mul_f64 v[254:255], v[32:33], s[54:55]
	v_add_f64 v[2:3], v[2:3], v[28:29]
	v_fma_f64 v[28:29], v[96:97], s[16:17], v[20:21]
	v_fma_f64 v[20:21], v[96:97], s[16:17], -v[20:21]
	v_add_f64 v[6:7], v[6:7], v[250:251]
	s_delay_alu instid0(VALU_DEP_3) | instskip(SKIP_1) | instid1(VALU_DEP_4)
	v_add_f64 v[0:1], v[28:29], v[0:1]
	v_mul_f64 v[28:29], v[116:117], s[46:47]
	v_add_f64 v[4:5], v[20:21], v[4:5]
	s_delay_alu instid0(VALU_DEP_2) | instskip(SKIP_2) | instid1(VALU_DEP_3)
	v_fma_f64 v[34:35], v[76:77], s[16:17], -v[28:29]
	v_fma_f64 v[20:21], v[76:77], s[16:17], v[28:29]
	v_mul_f64 v[28:29], v[110:111], s[36:37]
	v_add_f64 v[2:3], v[34:35], v[2:3]
	v_mul_f64 v[34:35], v[122:123], s[50:51]
	s_delay_alu instid0(VALU_DEP_4) | instskip(NEXT) | instid1(VALU_DEP_2)
	v_add_f64 v[6:7], v[20:21], v[6:7]
	v_fma_f64 v[36:37], v[126:127], s[10:11], v[34:35]
	v_fma_f64 v[20:21], v[126:127], s[10:11], -v[34:35]
	v_fma_f64 v[34:35], v[72:73], s[20:21], -v[28:29]
	v_fma_f64 v[28:29], v[72:73], s[20:21], v[28:29]
	s_delay_alu instid0(VALU_DEP_4) | instskip(SKIP_4) | instid1(VALU_DEP_4)
	v_add_f64 v[0:1], v[36:37], v[0:1]
	v_mul_f64 v[36:37], v[32:33], s[50:51]
	v_add_f64 v[4:5], v[20:21], v[4:5]
	v_add_f64 v[16:17], v[34:35], v[16:17]
	v_mul_f64 v[34:35], v[118:119], s[38:39]
	v_fma_f64 v[38:39], v[80:81], s[10:11], -v[36:37]
	v_fma_f64 v[20:21], v[80:81], s[10:11], v[36:37]
	s_delay_alu instid0(VALU_DEP_3) | instskip(SKIP_1) | instid1(VALU_DEP_4)
	v_fma_f64 v[36:37], v[96:97], s[2:3], v[34:35]
	v_fma_f64 v[34:35], v[96:97], s[2:3], -v[34:35]
	v_add_f64 v[2:3], v[38:39], v[2:3]
	v_mul_f64 v[38:39], v[186:187], s[28:29]
	v_add_f64 v[6:7], v[20:21], v[6:7]
	s_delay_alu instid0(VALU_DEP_2) | instskip(SKIP_2) | instid1(VALU_DEP_3)
	v_fma_f64 v[42:43], v[108:109], s[12:13], v[38:39]
	v_fma_f64 v[20:21], v[108:109], s[12:13], -v[38:39]
	v_mul_f64 v[38:39], v[122:123], s[26:27]
	v_add_f64 v[0:1], v[42:43], v[0:1]
	v_mul_f64 v[42:43], v[120:121], s[28:29]
	s_delay_alu instid0(VALU_DEP_4) | instskip(NEXT) | instid1(VALU_DEP_2)
	v_add_f64 v[4:5], v[20:21], v[4:5]
	v_fma_f64 v[44:45], v[88:89], s[12:13], -v[42:43]
	v_fma_f64 v[20:21], v[88:89], s[12:13], v[42:43]
	v_mul_f64 v[42:43], v[80:81], s[14:15]
	s_delay_alu instid0(VALU_DEP_3) | instskip(SKIP_1) | instid1(VALU_DEP_4)
	v_add_f64 v[2:3], v[44:45], v[2:3]
	v_mul_f64 v[44:45], v[242:243], s[36:37]
	v_add_f64 v[6:7], v[20:21], v[6:7]
	s_delay_alu instid0(VALU_DEP_2) | instskip(SKIP_2) | instid1(VALU_DEP_3)
	v_fma_f64 v[48:49], v[174:175], s[20:21], v[44:45]
	v_fma_f64 v[20:21], v[174:175], s[20:21], -v[44:45]
	v_mul_f64 v[44:45], v[186:187], s[34:35]
	v_add_f64 v[0:1], v[48:49], v[0:1]
	v_mul_f64 v[48:49], v[184:185], s[36:37]
	s_delay_alu instid0(VALU_DEP_4) | instskip(NEXT) | instid1(VALU_DEP_2)
	v_add_f64 v[4:5], v[20:21], v[4:5]
	v_fma_f64 v[64:65], v[94:95], s[20:21], -v[48:49]
	v_fma_f64 v[20:21], v[94:95], s[20:21], v[48:49]
	v_mul_f64 v[48:49], v[88:89], s[16:17]
	s_delay_alu instid0(VALU_DEP_3) | instskip(SKIP_1) | instid1(VALU_DEP_4)
	v_add_f64 v[2:3], v[64:65], v[2:3]
	v_mul_f64 v[64:65], v[244:245], s[0:1]
	v_add_f64 v[6:7], v[20:21], v[6:7]
	s_delay_alu instid0(VALU_DEP_2)
	v_fma_f64 v[104:105], v[211:212], s[18:19], v[64:65]
	v_fma_f64 v[20:21], v[211:212], s[18:19], -v[64:65]
	v_dual_mov_b32 v64, v140 :: v_dual_mov_b32 v65, v141
	v_mov_b32_e32 v141, v173
	v_dual_mov_b32 v173, v183 :: v_dual_mov_b32 v140, v182
	v_mul_f64 v[182:183], v[110:111], s[34:35]
	v_add_f64 v[0:1], v[104:105], v[0:1]
	v_mul_f64 v[104:105], v[240:241], s[0:1]
	v_add_f64 v[4:5], v[20:21], v[4:5]
	s_delay_alu instid0(VALU_DEP_2) | instskip(SKIP_2) | instid1(VALU_DEP_3)
	v_fma_f64 v[106:107], v[98:99], s[18:19], -v[104:105]
	v_fma_f64 v[20:21], v[98:99], s[18:19], v[104:105]
	v_mov_b32_e32 v104, v195
	v_add_f64 v[106:107], v[106:107], v[2:3]
	v_fma_f64 v[2:3], v[208:209], s[2:3], v[252:253]
	s_delay_alu instid0(VALU_DEP_4) | instskip(SKIP_1) | instid1(VALU_DEP_3)
	v_add_f64 v[20:21], v[20:21], v[6:7]
	v_fma_f64 v[6:7], v[208:209], s[2:3], -v[252:253]
	v_add_f64 v[2:3], v[2:3], v[0:1]
	v_fma_f64 v[0:1], v[102:103], s[2:3], -v[12:13]
	v_fma_f64 v[12:13], v[102:103], s[2:3], v[12:13]
	s_delay_alu instid0(VALU_DEP_2)
	v_add_f64 v[0:1], v[0:1], v[106:107]
	v_mov_b32_e32 v107, v181
	v_mul_f64 v[105:106], v[242:243], s[52:53]
	scratch_store_b128 off, v[0:3], off offset:956 ; 16-byte Folded Spill
	v_add_f64 v[0:1], v[12:13], v[20:21]
	v_mul_f64 v[12:13], v[114:115], s[36:37]
	v_add_f64 v[2:3], v[6:7], v[4:5]
	v_mul_f64 v[6:7], v[116:117], s[30:31]
	v_mul_f64 v[4:5], v[122:123], s[48:49]
	s_delay_alu instid0(VALU_DEP_4)
	v_fma_f64 v[20:21], v[92:93], s[20:21], v[12:13]
	scratch_store_b128 off, v[0:3], off offset:972 ; 16-byte Folded Spill
	v_mul_f64 v[0:1], v[116:117], s[38:39]
	v_fma_f64 v[12:13], v[92:93], s[20:21], -v[12:13]
	v_add_f64 v[20:21], v[20:21], v[54:55]
	v_mul_f64 v[54:55], v[240:241], s[50:51]
	s_clause 0x4
	scratch_store_b64 off, v[0:1], off offset:1180
	scratch_store_b128 off, v[226:229], off offset:636
	scratch_store_b128 off, v[222:225], off offset:660
	scratch_store_b128 off, v[217:220], off offset:676
	scratch_store_b32 off, v188, off offset:652
	v_mov_b32_e32 v188, v125
	v_mul_f64 v[124:125], v[246:247], s[0:1]
	v_dual_mov_b32 v227, v57 :: v_dual_mov_b32 v220, v59
	v_mul_f64 v[224:225], v[184:185], s[46:47]
	v_mul_f64 v[217:218], v[244:245], s[54:55]
	v_mul_f64 v[222:223], v[184:185], s[52:53]
	v_mul_f64 v[228:229], v[244:245], s[40:41]
	v_dual_mov_b32 v226, v56 :: v_dual_mov_b32 v219, v58
	v_dual_mov_b32 v56, v204 :: v_dual_mov_b32 v57, v205
	v_mov_b32_e32 v59, v207
	v_add_f64 v[20:21], v[36:37], v[20:21]
	v_fma_f64 v[36:37], v[76:77], s[2:3], -v[0:1]
	s_delay_alu instid0(VALU_DEP_1) | instskip(SKIP_1) | instid1(VALU_DEP_1)
	v_add_f64 v[16:17], v[36:37], v[16:17]
	v_fma_f64 v[36:37], v[126:127], s[12:13], v[112:113]
	v_add_f64 v[20:21], v[36:37], v[20:21]
	v_fma_f64 v[36:37], v[80:81], s[12:13], -v[254:255]
	s_delay_alu instid0(VALU_DEP_1) | instskip(SKIP_2) | instid1(VALU_DEP_2)
	v_add_f64 v[16:17], v[36:37], v[16:17]
	v_fma_f64 v[36:37], v[108:109], s[24:25], v[14:15]
	v_fma_f64 v[14:15], v[108:109], s[24:25], -v[14:15]
	v_add_f64 v[20:21], v[36:37], v[20:21]
	v_fma_f64 v[36:37], v[88:89], s[24:25], -v[66:67]
	s_delay_alu instid0(VALU_DEP_1) | instskip(SKIP_1) | instid1(VALU_DEP_1)
	v_add_f64 v[16:17], v[36:37], v[16:17]
	v_fma_f64 v[36:37], v[174:175], s[14:15], v[68:69]
	v_add_f64 v[20:21], v[36:37], v[20:21]
	v_fma_f64 v[36:37], v[94:95], s[14:15], -v[70:71]
	s_delay_alu instid0(VALU_DEP_1) | instskip(SKIP_1) | instid1(VALU_DEP_1)
	v_add_f64 v[16:17], v[36:37], v[16:17]
	v_fma_f64 v[36:37], v[211:212], s[10:11], v[215:216]
	;; [unrolled: 5-line block ×3, first 2 shown]
	v_add_f64 v[2:3], v[36:37], v[20:21]
	v_fma_f64 v[20:21], v[102:103], s[18:19], -v[124:125]
	v_mul_f64 v[36:37], v[76:77], s[12:13]
	s_delay_alu instid0(VALU_DEP_2)
	v_add_f64 v[0:1], v[20:21], v[16:17]
	v_mul_f64 v[16:17], v[32:33], s[48:49]
	scratch_store_b128 off, v[0:3], off offset:988 ; 16-byte Folded Spill
	v_mul_f64 v[0:1], v[114:115], s[22:23]
	v_mul_f64 v[2:3], v[186:187], s[26:27]
	scratch_store_b64 off, v[0:1], off offset:1004 ; 8-byte Folded Spill
	v_fma_f64 v[20:21], v[92:93], s[10:11], -v[0:1]
	v_mul_f64 v[0:1], v[110:111], s[22:23]
	s_delay_alu instid0(VALU_DEP_2) | instskip(SKIP_3) | instid1(VALU_DEP_2)
	v_add_f64 v[10:11], v[20:21], v[10:11]
	scratch_store_b64 off, v[0:1], off offset:1012 ; 8-byte Folded Spill
	v_fma_f64 v[20:21], v[72:73], s[10:11], v[0:1]
	v_mul_f64 v[0:1], v[118:119], s[42:43]
	v_add_f64 v[20:21], v[20:21], v[24:25]
	scratch_store_b64 off, v[0:1], off offset:1020 ; 8-byte Folded Spill
	v_fma_f64 v[24:25], v[96:97], s[20:21], -v[0:1]
	v_mul_f64 v[0:1], v[116:117], s[42:43]
	s_clause 0x1
	scratch_store_b32 off, v180, off offset:612
	scratch_store_b32 off, v164, off offset:604
	v_mov_b32_e32 v164, v194
	v_mov_b32_e32 v58, v206
	v_mul_f64 v[206:207], v[110:111], s[30:31]
	v_mul_f64 v[180:181], v[246:247], s[50:51]
	;; [unrolled: 1-line block ×4, first 2 shown]
	v_add_f64 v[10:11], v[24:25], v[10:11]
	scratch_store_b64 off, v[0:1], off offset:1028 ; 8-byte Folded Spill
	v_fma_f64 v[24:25], v[76:77], s[20:21], v[0:1]
	v_mul_f64 v[0:1], v[122:123], s[38:39]
	s_delay_alu instid0(VALU_DEP_2) | instskip(SKIP_3) | instid1(VALU_DEP_2)
	v_add_f64 v[20:21], v[24:25], v[20:21]
	scratch_store_b64 off, v[0:1], off offset:1036 ; 8-byte Folded Spill
	v_fma_f64 v[24:25], v[126:127], s[2:3], -v[0:1]
	v_mul_f64 v[0:1], v[32:33], s[38:39]
	v_add_f64 v[10:11], v[24:25], v[10:11]
	scratch_store_b64 off, v[0:1], off offset:1044 ; 8-byte Folded Spill
	v_fma_f64 v[24:25], v[80:81], s[2:3], v[0:1]
	v_mul_f64 v[0:1], v[186:187], s[0:1]
	s_delay_alu instid0(VALU_DEP_2) | instskip(SKIP_3) | instid1(VALU_DEP_2)
	v_add_f64 v[20:21], v[24:25], v[20:21]
	scratch_store_b64 off, v[0:1], off offset:1060 ; 8-byte Folded Spill
	v_fma_f64 v[24:25], v[108:109], s[18:19], -v[0:1]
	v_mul_f64 v[0:1], v[120:121], s[0:1]
	v_add_f64 v[10:11], v[24:25], v[10:11]
	scratch_store_b64 off, v[0:1], off offset:1068 ; 8-byte Folded Spill
	v_fma_f64 v[24:25], v[88:89], s[18:19], v[0:1]
	v_mul_f64 v[0:1], v[242:243], s[28:29]
	s_delay_alu instid0(VALU_DEP_2) | instskip(SKIP_4) | instid1(VALU_DEP_3)
	v_add_f64 v[20:21], v[24:25], v[20:21]
	scratch_store_b64 off, v[0:1], off offset:1076 ; 8-byte Folded Spill
	v_fma_f64 v[24:25], v[174:175], s[12:13], -v[0:1]
	v_mul_f64 v[0:1], v[184:185], s[28:29]
	v_mul_f64 v[184:185], v[184:185], s[22:23]
	v_add_f64 v[10:11], v[24:25], v[10:11]
	scratch_store_b64 off, v[0:1], off offset:1092 ; 8-byte Folded Spill
	v_fma_f64 v[24:25], v[94:95], s[12:13], v[0:1]
	v_mul_f64 v[0:1], v[244:245], s[46:47]
	s_delay_alu instid0(VALU_DEP_2) | instskip(SKIP_4) | instid1(VALU_DEP_3)
	v_add_f64 v[20:21], v[24:25], v[20:21]
	scratch_store_b64 off, v[0:1], off offset:1100 ; 8-byte Folded Spill
	v_fma_f64 v[24:25], v[211:212], s[16:17], -v[0:1]
	v_mul_f64 v[0:1], v[240:241], s[46:47]
	v_mul_f64 v[240:241], v[240:241], s[26:27]
	v_add_f64 v[10:11], v[24:25], v[10:11]
	scratch_store_b64 off, v[0:1], off offset:1116 ; 8-byte Folded Spill
	v_fma_f64 v[24:25], v[98:99], s[16:17], v[0:1]
	v_mul_f64 v[0:1], v[248:249], s[26:27]
	s_delay_alu instid0(VALU_DEP_2) | instskip(SKIP_3) | instid1(VALU_DEP_2)
	v_add_f64 v[20:21], v[24:25], v[20:21]
	scratch_store_b64 off, v[0:1], off offset:1124 ; 8-byte Folded Spill
	v_fma_f64 v[24:25], v[208:209], s[14:15], -v[0:1]
	v_mul_f64 v[0:1], v[246:247], s[26:27]
	v_add_f64 v[252:253], v[24:25], v[10:11]
	scratch_store_b64 off, v[0:1], off offset:1132 ; 8-byte Folded Spill
	v_fma_f64 v[10:11], v[102:103], s[14:15], v[0:1]
	scratch_load_b64 v[0:1], off, off offset:260 ; 8-byte Folded Reload
	v_mul_f64 v[24:25], v[118:119], s[28:29]
	scratch_store_b64 off, v[78:79], off offset:260 ; 8-byte Folded Spill
	v_mul_f64 v[78:79], v[120:121], s[42:43]
	v_mul_f64 v[120:121], v[120:121], s[52:53]
	v_add_f64 v[250:251], v[10:11], v[20:21]
	v_mul_f64 v[10:11], v[114:115], s[38:39]
	v_mul_f64 v[20:21], v[72:73], s[2:3]
	s_waitcnt vmcnt(0)
	s_delay_alu instid0(VALU_DEP_2)
	v_add_f64 v[10:11], v[0:1], -v[10:11]
	scratch_load_b64 v[0:1], off, off offset:948 ; 8-byte Folded Reload
	v_add_f64 v[10:11], v[10:11], v[22:23]
	v_mul_f64 v[22:23], v[94:95], s[18:19]
	s_waitcnt vmcnt(0)
	v_add_f64 v[20:21], v[20:21], v[0:1]
	scratch_load_b64 v[0:1], off, off offset:276 ; 8-byte Folded Reload
	v_add_f64 v[20:21], v[20:21], v[30:31]
	v_mul_f64 v[30:31], v[98:99], s[20:21]
	s_waitcnt vmcnt(0)
	v_add_f64 v[24:25], v[0:1], -v[24:25]
	scratch_load_b64 v[0:1], off, off offset:268 ; 8-byte Folded Reload
	scratch_store_b64 off, v[74:75], off offset:268 ; 8-byte Folded Spill
	v_mul_f64 v[74:75], v[186:187], s[42:43]
	v_add_f64 v[10:11], v[24:25], v[10:11]
	v_mul_f64 v[24:25], v[244:245], s[36:37]
	s_waitcnt vmcnt(0)
	v_add_f64 v[36:37], v[36:37], v[0:1]
	scratch_load_b64 v[0:1], off, off offset:292 ; 8-byte Folded Reload
	v_add_f64 v[20:21], v[36:37], v[20:21]
	v_mul_f64 v[36:37], v[248:249], s[48:49]
	s_waitcnt vmcnt(0)
	v_add_f64 v[38:39], v[0:1], -v[38:39]
	scratch_load_b64 v[0:1], off, off offset:284 ; 8-byte Folded Reload
	v_add_f64 v[10:11], v[38:39], v[10:11]
	v_mul_f64 v[38:39], v[80:81], s[18:19]
	s_waitcnt vmcnt(0)
	v_add_f64 v[42:43], v[42:43], v[0:1]
	scratch_load_b64 v[0:1], off, off offset:324 ; 8-byte Folded Reload
	v_add_f64 v[20:21], v[42:43], v[20:21]
	s_waitcnt vmcnt(0)
	v_add_f64 v[44:45], v[0:1], -v[44:45]
	scratch_load_b64 v[0:1], off, off offset:300 ; 8-byte Folded Reload
	v_add_f64 v[10:11], v[44:45], v[10:11]
	s_waitcnt vmcnt(0)
	v_add_f64 v[48:49], v[48:49], v[0:1]
	scratch_load_b64 v[0:1], off, off offset:500 ; 8-byte Folded Reload
	v_add_f64 v[20:21], v[48:49], v[20:21]
	v_mul_f64 v[48:49], v[88:89], s[10:11]
	s_waitcnt vmcnt(0)
	v_add_f64 v[50:51], v[0:1], -v[50:51]
	scratch_load_b64 v[0:1], off, off offset:308 ; 8-byte Folded Reload
	v_add_f64 v[10:11], v[50:51], v[10:11]
	v_mul_f64 v[50:51], v[242:243], s[40:41]
	v_mul_f64 v[242:243], v[242:243], s[22:23]
	s_waitcnt vmcnt(0)
	v_add_f64 v[22:23], v[22:23], v[0:1]
	scratch_load_b64 v[0:1], off, off offset:516 ; 8-byte Folded Reload
	v_add_f64 v[20:21], v[22:23], v[20:21]
	v_mul_f64 v[22:23], v[102:103], s[24:25]
	s_waitcnt vmcnt(0)
	v_add_f64 v[24:25], v[0:1], -v[24:25]
	scratch_load_b64 v[0:1], off, off offset:340 ; 8-byte Folded Reload
	v_add_f64 v[10:11], v[24:25], v[10:11]
	v_mul_f64 v[24:25], v[76:77], s[14:15]
	s_waitcnt vmcnt(0)
	v_add_f64 v[30:31], v[30:31], v[0:1]
	scratch_load_b64 v[0:1], off, off offset:548 ; 8-byte Folded Reload
	v_add_f64 v[20:21], v[30:31], v[20:21]
	v_mul_f64 v[30:31], v[122:123], s[30:31]
	v_mul_f64 v[122:123], v[122:123], s[46:47]
	s_waitcnt vmcnt(0)
	v_add_f64 v[36:37], v[0:1], -v[36:37]
	scratch_load_b64 v[0:1], off, off offset:508 ; 8-byte Folded Reload
	v_add_f64 v[44:45], v[36:37], v[10:11]
	v_mul_f64 v[10:11], v[114:115], s[28:29]
	v_mul_f64 v[36:37], v[186:187], s[50:51]
	;; [unrolled: 1-line block ×3, first 2 shown]
	s_waitcnt vmcnt(0)
	v_add_f64 v[22:23], v[22:23], v[0:1]
	scratch_load_b64 v[0:1], off, off offset:556 ; 8-byte Folded Reload
	v_add_f64 v[42:43], v[22:23], v[20:21]
	v_mul_f64 v[20:21], v[72:73], s[12:13]
	v_mul_f64 v[22:23], v[118:119], s[44:45]
	s_waitcnt vmcnt(0)
	v_add_f64 v[10:11], v[0:1], -v[10:11]
	scratch_load_b64 v[0:1], off, off offset:524 ; 8-byte Folded Reload
	v_add_f64 v[8:9], v[10:11], v[8:9]
	s_waitcnt vmcnt(0)
	v_add_f64 v[20:21], v[20:21], v[0:1]
	scratch_load_b64 v[0:1], off, off offset:564 ; 8-byte Folded Reload
	v_add_f64 v[10:11], v[20:21], v[18:19]
	v_mul_f64 v[18:19], v[94:95], s[24:25]
	v_mul_f64 v[20:21], v[244:245], s[38:39]
	;; [unrolled: 1-line block ×3, first 2 shown]
	s_waitcnt vmcnt(0)
	v_add_f64 v[22:23], v[0:1], -v[22:23]
	scratch_load_b64 v[0:1], off, off offset:532 ; 8-byte Folded Reload
	v_add_f64 v[8:9], v[22:23], v[8:9]
	v_mul_f64 v[22:23], v[98:99], s[2:3]
	s_waitcnt vmcnt(0)
	v_add_f64 v[24:25], v[24:25], v[0:1]
	scratch_load_b64 v[0:1], off, off offset:588 ; 8-byte Folded Reload
	v_add_f64 v[10:11], v[24:25], v[10:11]
	v_mul_f64 v[24:25], v[248:249], s[46:47]
	v_mul_f64 v[248:249], v[248:249], s[36:37]
	s_waitcnt vmcnt(0)
	v_add_f64 v[30:31], v[0:1], -v[30:31]
	scratch_load_b64 v[0:1], off, off offset:596 ; 8-byte Folded Reload
	v_add_f64 v[8:9], v[30:31], v[8:9]
	v_mul_f64 v[30:31], v[114:115], s[26:27]
	s_waitcnt vmcnt(0)
	v_add_f64 v[36:37], v[0:1], -v[36:37]
	scratch_load_b64 v[0:1], off, off offset:540 ; 8-byte Folded Reload
	v_add_f64 v[8:9], v[36:37], v[8:9]
	v_fma_f64 v[36:37], v[72:73], s[16:17], v[182:183]
	s_delay_alu instid0(VALU_DEP_1)
	v_add_f64 v[36:37], v[36:37], v[236:237]
	v_mul_f64 v[236:237], v[118:119], s[50:51]
	s_waitcnt vmcnt(0)
	v_add_f64 v[38:39], v[38:39], v[0:1]
	scratch_load_b64 v[0:1], off, off offset:572 ; 8-byte Folded Reload
	v_add_f64 v[10:11], v[38:39], v[10:11]
	v_fma_f64 v[38:39], v[96:97], s[10:11], -v[236:237]
	s_waitcnt vmcnt(0)
	v_add_f64 v[48:49], v[48:49], v[0:1]
	scratch_load_b64 v[0:1], off, off offset:940 ; 8-byte Folded Reload
	v_add_f64 v[10:11], v[48:49], v[10:11]
	s_waitcnt vmcnt(0)
	v_add_f64 v[50:51], v[0:1], -v[50:51]
	scratch_load_b64 v[0:1], off, off offset:580 ; 8-byte Folded Reload
	v_add_f64 v[8:9], v[50:51], v[8:9]
	scratch_load_b64 v[50:51], off, off offset:884 ; 8-byte Folded Reload
	s_waitcnt vmcnt(1)
	v_add_f64 v[18:19], v[18:19], v[0:1]
	scratch_load_b64 v[0:1], off, off offset:932 ; 8-byte Folded Reload
	v_add_f64 v[10:11], v[18:19], v[10:11]
	v_mul_f64 v[18:19], v[102:103], s[16:17]
	s_waitcnt vmcnt(0)
	v_add_f64 v[20:21], v[0:1], -v[20:21]
	scratch_load_b64 v[0:1], off, off offset:908 ; 8-byte Folded Reload
	v_add_f64 v[8:9], v[20:21], v[8:9]
	s_waitcnt vmcnt(0)
	v_add_f64 v[22:23], v[22:23], v[0:1]
	scratch_load_b64 v[0:1], off, off offset:924 ; 8-byte Folded Reload
	v_add_f64 v[10:11], v[22:23], v[10:11]
	s_waitcnt vmcnt(0)
	v_add_f64 v[24:25], v[0:1], -v[24:25]
	scratch_load_b64 v[0:1], off, off offset:916 ; 8-byte Folded Reload
	v_add_f64 v[20:21], v[24:25], v[8:9]
	v_fma_f64 v[8:9], v[92:93], s[14:15], -v[30:31]
	s_delay_alu instid0(VALU_DEP_1)
	v_add_f64 v[8:9], v[8:9], v[26:27]
	v_mul_f64 v[26:27], v[110:111], s[26:27]
	scratch_load_b64 v[110:111], off, off offset:876 ; 8-byte Folded Reload
	s_waitcnt vmcnt(1)
	v_add_f64 v[18:19], v[18:19], v[0:1]
	v_mul_f64 v[0:1], v[32:33], s[42:43]
	v_mul_f64 v[32:33], v[32:33], s[46:47]
	s_delay_alu instid0(VALU_DEP_3) | instskip(SKIP_1) | instid1(VALU_DEP_1)
	v_add_f64 v[18:19], v[18:19], v[10:11]
	v_fma_f64 v[10:11], v[72:73], s[14:15], v[26:27]
	v_add_f64 v[10:11], v[10:11], v[40:41]
	v_mul_f64 v[40:41], v[118:119], s[30:31]
	v_mul_f64 v[118:119], v[118:119], s[40:41]
	s_delay_alu instid0(VALU_DEP_2) | instskip(NEXT) | instid1(VALU_DEP_1)
	v_fma_f64 v[22:23], v[96:97], s[18:19], -v[40:41]
	v_add_f64 v[8:9], v[22:23], v[8:9]
	v_fma_f64 v[22:23], v[76:77], s[18:19], v[6:7]
	s_delay_alu instid0(VALU_DEP_1) | instskip(SKIP_1) | instid1(VALU_DEP_1)
	v_add_f64 v[10:11], v[22:23], v[10:11]
	v_fma_f64 v[22:23], v[126:127], s[24:25], -v[4:5]
	v_add_f64 v[8:9], v[22:23], v[8:9]
	v_fma_f64 v[22:23], v[80:81], s[24:25], v[16:17]
	s_delay_alu instid0(VALU_DEP_1) | instskip(SKIP_1) | instid1(VALU_DEP_1)
	v_add_f64 v[10:11], v[22:23], v[10:11]
	;; [unrolled: 5-line block ×5, first 2 shown]
	v_fma_f64 v[22:23], v[208:209], s[10:11], -v[178:179]
	v_add_f64 v[24:25], v[22:23], v[8:9]
	v_fma_f64 v[8:9], v[102:103], s[10:11], v[180:181]
	s_delay_alu instid0(VALU_DEP_1) | instskip(SKIP_2) | instid1(VALU_DEP_2)
	v_add_f64 v[22:23], v[8:9], v[10:11]
	v_mul_f64 v[8:9], v[114:115], s[34:35]
	v_mul_f64 v[114:115], v[114:115], s[30:31]
	v_fma_f64 v[10:11], v[92:93], s[16:17], -v[8:9]
	v_fma_f64 v[8:9], v[92:93], s[16:17], v[8:9]
	s_delay_alu instid0(VALU_DEP_2) | instskip(SKIP_2) | instid1(VALU_DEP_3)
	v_add_f64 v[10:11], v[10:11], v[238:239]
	v_mul_f64 v[238:239], v[116:117], s[50:51]
	v_mul_f64 v[116:117], v[116:117], s[40:41]
	v_add_f64 v[10:11], v[38:39], v[10:11]
	s_delay_alu instid0(VALU_DEP_3) | instskip(NEXT) | instid1(VALU_DEP_1)
	v_fma_f64 v[38:39], v[76:77], s[10:11], v[238:239]
	v_add_f64 v[36:37], v[38:39], v[36:37]
	v_fma_f64 v[38:39], v[126:127], s[20:21], -v[234:235]
	s_delay_alu instid0(VALU_DEP_1) | instskip(SKIP_1) | instid1(VALU_DEP_1)
	v_add_f64 v[10:11], v[38:39], v[10:11]
	v_fma_f64 v[38:39], v[80:81], s[20:21], v[0:1]
	v_add_f64 v[36:37], v[38:39], v[36:37]
	v_fma_f64 v[38:39], v[108:109], s[14:15], -v[2:3]
	s_delay_alu instid0(VALU_DEP_1) | instskip(SKIP_1) | instid1(VALU_DEP_1)
	v_add_f64 v[10:11], v[38:39], v[10:11]
	;; [unrolled: 5-line block ×4, first 2 shown]
	v_fma_f64 v[38:39], v[98:99], s[24:25], v[142:143]
	v_add_f64 v[36:37], v[38:39], v[36:37]
	v_fma_f64 v[38:39], v[208:209], s[12:13], -v[204:205]
	s_delay_alu instid0(VALU_DEP_1) | instskip(SKIP_2) | instid1(VALU_DEP_2)
	v_add_f64 v[38:39], v[38:39], v[10:11]
	v_mul_f64 v[10:11], v[246:247], s[28:29]
	v_mul_f64 v[246:247], v[246:247], s[36:37]
	v_fma_f64 v[48:49], v[102:103], s[12:13], v[10:11]
	v_fma_f64 v[10:11], v[102:103], s[12:13], -v[10:11]
	s_delay_alu instid0(VALU_DEP_2) | instskip(SKIP_1) | instid1(VALU_DEP_1)
	v_add_f64 v[36:37], v[48:49], v[36:37]
	v_fma_f64 v[48:49], v[92:93], s[18:19], -v[114:115]
	v_add_f64 v[48:49], v[48:49], v[50:51]
	v_fma_f64 v[50:51], v[72:73], s[18:19], v[206:207]
	s_waitcnt vmcnt(0)
	s_delay_alu instid0(VALU_DEP_1) | instskip(SKIP_1) | instid1(VALU_DEP_1)
	v_add_f64 v[50:51], v[50:51], v[110:111]
	v_fma_f64 v[110:111], v[96:97], s[24:25], -v[118:119]
	v_add_f64 v[48:49], v[110:111], v[48:49]
	v_fma_f64 v[110:111], v[76:77], s[24:25], v[116:117]
	s_delay_alu instid0(VALU_DEP_1) | instskip(SKIP_1) | instid1(VALU_DEP_1)
	v_add_f64 v[50:51], v[110:111], v[50:51]
	v_fma_f64 v[110:111], v[126:127], s[16:17], -v[122:123]
	v_add_f64 v[48:49], v[110:111], v[48:49]
	v_fma_f64 v[110:111], v[80:81], s[16:17], v[32:33]
	s_delay_alu instid0(VALU_DEP_1) | instskip(SKIP_1) | instid1(VALU_DEP_1)
	v_add_f64 v[50:51], v[110:111], v[50:51]
	v_fma_f64 v[110:111], v[108:109], s[2:3], -v[186:187]
	v_add_f64 v[48:49], v[110:111], v[48:49]
	v_fma_f64 v[110:111], v[88:89], s[2:3], v[120:121]
	s_delay_alu instid0(VALU_DEP_1) | instskip(SKIP_1) | instid1(VALU_DEP_1)
	v_add_f64 v[50:51], v[110:111], v[50:51]
	v_fma_f64 v[110:111], v[174:175], s[10:11], -v[242:243]
	v_add_f64 v[48:49], v[110:111], v[48:49]
	v_fma_f64 v[110:111], v[94:95], s[10:11], v[184:185]
	s_delay_alu instid0(VALU_DEP_1) | instskip(SKIP_1) | instid1(VALU_DEP_1)
	v_add_f64 v[50:51], v[110:111], v[50:51]
	v_fma_f64 v[110:111], v[211:212], s[14:15], -v[244:245]
	v_add_f64 v[48:49], v[110:111], v[48:49]
	v_fma_f64 v[110:111], v[98:99], s[14:15], v[240:241]
	s_delay_alu instid0(VALU_DEP_1) | instskip(SKIP_1) | instid1(VALU_DEP_1)
	v_add_f64 v[110:111], v[110:111], v[50:51]
	v_fma_f64 v[50:51], v[208:209], s[20:21], -v[248:249]
	v_add_f64 v[50:51], v[50:51], v[48:49]
	v_fma_f64 v[48:49], v[102:103], s[20:21], v[246:247]
	s_delay_alu instid0(VALU_DEP_1)
	v_add_f64 v[48:49], v[48:49], v[110:111]
	scratch_load_b64 v[110:111], off, off offset:868 ; 8-byte Folded Reload
	s_waitcnt vmcnt(0)
	v_add_f64 v[12:13], v[12:13], v[110:111]
	scratch_load_b64 v[110:111], off, off offset:860 ; 8-byte Folded Reload
	v_add_f64 v[12:13], v[34:35], v[12:13]
	scratch_load_b64 v[34:35], off, off offset:1180 ; 8-byte Folded Reload
	s_waitcnt vmcnt(1)
	v_add_f64 v[28:29], v[28:29], v[110:111]
	s_waitcnt vmcnt(0)
	v_fma_f64 v[34:35], v[76:77], s[2:3], v[34:35]
	s_delay_alu instid0(VALU_DEP_1) | instskip(SKIP_1) | instid1(VALU_DEP_1)
	v_add_f64 v[28:29], v[34:35], v[28:29]
	v_fma_f64 v[34:35], v[126:127], s[12:13], -v[112:113]
	v_add_f64 v[12:13], v[34:35], v[12:13]
	v_fma_f64 v[34:35], v[80:81], s[12:13], v[254:255]
	s_delay_alu instid0(VALU_DEP_2) | instskip(NEXT) | instid1(VALU_DEP_2)
	v_add_f64 v[12:13], v[14:15], v[12:13]
	v_add_f64 v[28:29], v[34:35], v[28:29]
	v_fma_f64 v[14:15], v[88:89], s[24:25], v[66:67]
	v_fma_f64 v[34:35], v[102:103], s[18:19], v[124:125]
	v_mov_b32_e32 v125, v188
	scratch_load_b32 v188, off, off offset:652 ; 4-byte Folded Reload
	v_add_f64 v[14:15], v[14:15], v[28:29]
	v_fma_f64 v[28:29], v[174:175], s[14:15], -v[68:69]
	s_delay_alu instid0(VALU_DEP_1) | instskip(SKIP_1) | instid1(VALU_DEP_1)
	v_add_f64 v[12:13], v[28:29], v[12:13]
	v_fma_f64 v[28:29], v[94:95], s[14:15], v[70:71]
	v_add_f64 v[14:15], v[28:29], v[14:15]
	v_fma_f64 v[28:29], v[211:212], s[10:11], -v[215:216]
	s_delay_alu instid0(VALU_DEP_1) | instskip(SKIP_1) | instid1(VALU_DEP_1)
	v_add_f64 v[12:13], v[28:29], v[12:13]
	v_fma_f64 v[28:29], v[98:99], s[10:11], v[54:55]
	v_add_f64 v[14:15], v[28:29], v[14:15]
	v_fma_f64 v[28:29], v[208:209], s[18:19], -v[90:91]
	s_delay_alu instid0(VALU_DEP_2)
	v_add_f64 v[110:111], v[34:35], v[14:15]
	scratch_load_b64 v[14:15], off, off offset:820 ; 8-byte Folded Reload
	v_add_f64 v[112:113], v[28:29], v[12:13]
	scratch_load_b64 v[28:29], off, off offset:812 ; 8-byte Folded Reload
	v_fma_f64 v[12:13], v[92:93], s[18:19], v[114:115]
	s_waitcnt vmcnt(1)
	s_delay_alu instid0(VALU_DEP_1) | instskip(SKIP_2) | instid1(VALU_DEP_1)
	v_add_f64 v[12:13], v[12:13], v[14:15]
	v_fma_f64 v[14:15], v[72:73], s[18:19], -v[206:207]
	s_waitcnt vmcnt(0)
	v_add_f64 v[14:15], v[14:15], v[28:29]
	v_fma_f64 v[28:29], v[96:97], s[24:25], v[118:119]
	s_delay_alu instid0(VALU_DEP_1) | instskip(SKIP_1) | instid1(VALU_DEP_1)
	v_add_f64 v[12:13], v[28:29], v[12:13]
	v_fma_f64 v[28:29], v[76:77], s[24:25], -v[116:117]
	v_add_f64 v[14:15], v[28:29], v[14:15]
	v_fma_f64 v[28:29], v[126:127], s[16:17], v[122:123]
	s_delay_alu instid0(VALU_DEP_1) | instskip(SKIP_2) | instid1(VALU_DEP_2)
	v_add_f64 v[12:13], v[28:29], v[12:13]
	v_fma_f64 v[28:29], v[80:81], s[16:17], -v[32:33]
	v_fma_f64 v[32:33], v[102:103], s[20:21], -v[246:247]
	v_add_f64 v[14:15], v[28:29], v[14:15]
	v_fma_f64 v[28:29], v[108:109], s[2:3], v[186:187]
	s_delay_alu instid0(VALU_DEP_1) | instskip(SKIP_1) | instid1(VALU_DEP_1)
	v_add_f64 v[12:13], v[28:29], v[12:13]
	v_fma_f64 v[28:29], v[88:89], s[2:3], -v[120:121]
	v_add_f64 v[14:15], v[28:29], v[14:15]
	v_fma_f64 v[28:29], v[174:175], s[10:11], v[242:243]
	s_delay_alu instid0(VALU_DEP_1) | instskip(SKIP_1) | instid1(VALU_DEP_1)
	v_add_f64 v[12:13], v[28:29], v[12:13]
	;; [unrolled: 5-line block ×3, first 2 shown]
	v_fma_f64 v[28:29], v[98:99], s[14:15], -v[240:241]
	v_add_f64 v[14:15], v[28:29], v[14:15]
	v_fma_f64 v[28:29], v[208:209], s[20:21], v[248:249]
	s_delay_alu instid0(VALU_DEP_2) | instskip(NEXT) | instid1(VALU_DEP_2)
	v_add_f64 v[114:115], v[32:33], v[14:15]
	v_add_f64 v[116:117], v[28:29], v[12:13]
	s_clause 0x1
	scratch_load_b64 v[12:13], off, off offset:900
	scratch_load_b64 v[14:15], off, off offset:892
	v_fma_f64 v[28:29], v[102:103], s[10:11], -v[180:181]
	v_mov_b32_e32 v181, v107
	s_waitcnt vmcnt(1)
	v_add_f64 v[8:9], v[8:9], v[12:13]
	v_fma_f64 v[12:13], v[72:73], s[16:17], -v[182:183]
	v_mov_b32_e32 v183, v173
	v_dual_mov_b32 v173, v141 :: v_dual_mov_b32 v182, v140
	s_waitcnt vmcnt(0)
	s_delay_alu instid0(VALU_DEP_3) | instskip(SKIP_1) | instid1(VALU_DEP_1)
	v_add_f64 v[12:13], v[12:13], v[14:15]
	v_fma_f64 v[14:15], v[96:97], s[10:11], v[236:237]
	v_add_f64 v[8:9], v[14:15], v[8:9]
	v_fma_f64 v[14:15], v[76:77], s[10:11], -v[238:239]
	s_delay_alu instid0(VALU_DEP_1) | instskip(SKIP_3) | instid1(VALU_DEP_3)
	v_add_f64 v[12:13], v[14:15], v[12:13]
	v_fma_f64 v[14:15], v[126:127], s[20:21], v[234:235]
	v_mov_b32_e32 v234, v52
	v_mov_b32_e32 v52, v210
	v_add_f64 v[8:9], v[14:15], v[8:9]
	v_fma_f64 v[14:15], v[80:81], s[20:21], -v[0:1]
	s_delay_alu instid0(VALU_DEP_1)
	v_add_f64 v[12:13], v[14:15], v[12:13]
	v_fma_f64 v[14:15], v[108:109], s[14:15], v[2:3]
	s_clause 0x1
	scratch_load_b64 v[0:1], off, off offset:756
	scratch_load_b64 v[2:3], off, off offset:796
	v_add_f64 v[8:9], v[14:15], v[8:9]
	v_fma_f64 v[14:15], v[88:89], s[14:15], -v[194:195]
	v_mov_b32_e32 v195, v104
	v_mov_b32_e32 v194, v164
	s_delay_alu instid0(VALU_DEP_3) | instskip(SKIP_1) | instid1(VALU_DEP_1)
	v_add_f64 v[12:13], v[14:15], v[12:13]
	v_fma_f64 v[14:15], v[174:175], s[2:3], v[105:106]
	v_add_f64 v[8:9], v[14:15], v[8:9]
	v_fma_f64 v[14:15], v[94:95], s[2:3], -v[222:223]
	s_delay_alu instid0(VALU_DEP_1) | instskip(SKIP_1) | instid1(VALU_DEP_1)
	v_add_f64 v[12:13], v[14:15], v[12:13]
	v_fma_f64 v[14:15], v[211:212], s[24:25], v[228:229]
	v_add_f64 v[8:9], v[14:15], v[8:9]
	v_fma_f64 v[14:15], v[98:99], s[24:25], -v[142:143]
	s_delay_alu instid0(VALU_DEP_1)
	v_add_f64 v[12:13], v[14:15], v[12:13]
	v_fma_f64 v[14:15], v[208:209], s[12:13], v[204:205]
	v_mov_b32_e32 v207, v59
	v_dual_mov_b32 v205, v57 :: v_dual_mov_b32 v206, v58
	v_mov_b32_e32 v204, v56
	v_add_f64 v[118:119], v[10:11], v[12:13]
	v_add_f64 v[120:121], v[14:15], v[8:9]
	v_fma_f64 v[14:15], v[72:73], s[14:15], -v[26:27]
	v_fma_f64 v[26:27], v[96:97], s[18:19], v[40:41]
	s_waitcnt vmcnt(0)
	v_add_f64 v[8:9], v[2:3], v[0:1]
	scratch_load_b64 v[0:1], off, off offset:804 ; 8-byte Folded Reload
	s_waitcnt vmcnt(0)
	v_add_f64 v[10:11], v[0:1], v[219:220]
	scratch_load_b64 v[0:1], off, off offset:764 ; 8-byte Folded Reload
	;; [unrolled: 3-line block ×10, first 2 shown]
	v_add_f64 v[10:11], v[10:11], v[64:65]
	s_waitcnt vmcnt(0)
	v_add_f64 v[8:9], v[8:9], v[0:1]
	scratch_load_b64 v[0:1], off, off offset:1052 ; 8-byte Folded Reload
	v_add_f64 v[8:9], v[8:9], v[82:83]
	s_delay_alu instid0(VALU_DEP_1)
	v_add_f64 v[8:9], v[8:9], v[100:101]
	s_waitcnt vmcnt(0)
	v_add_f64 v[10:11], v[10:11], v[0:1]
	scratch_load_b64 v[0:1], off, off offset:260 ; 8-byte Folded Reload
	v_add_f64 v[10:11], v[10:11], v[213:214]
	s_waitcnt vmcnt(0)
	v_add_f64 v[8:9], v[8:9], v[0:1]
	scratch_load_b64 v[0:1], off, off offset:252 ; 8-byte Folded Reload
	s_waitcnt vmcnt(0)
	v_add_f64 v[10:11], v[10:11], v[0:1]
	scratch_load_b64 v[0:1], off, off offset:772 ; 8-byte Folded Reload
	;; [unrolled: 3-line block ×9, first 2 shown]
	v_add_f64 v[8:9], v[8:9], v[226:227]
	s_waitcnt vmcnt(0)
	v_add_f64 v[10:11], v[10:11], v[0:1]
	scratch_load_b64 v[0:1], off, off offset:748 ; 8-byte Folded Reload
	s_waitcnt vmcnt(0)
	v_add_f64 v[12:13], v[10:11], v[0:1]
	scratch_load_b64 v[0:1], off, off offset:692 ; 8-byte Folded Reload
	;; [unrolled: 3-line block ×4, first 2 shown]
	v_fma_f64 v[12:13], v[92:93], s[14:15], v[30:31]
	s_waitcnt vmcnt(0)
	s_delay_alu instid0(VALU_DEP_1)
	v_add_f64 v[12:13], v[12:13], v[0:1]
	scratch_load_b64 v[0:1], off, off offset:836 ; 8-byte Folded Reload
	v_add_f64 v[12:13], v[26:27], v[12:13]
	v_fma_f64 v[26:27], v[76:77], s[18:19], -v[6:7]
	s_waitcnt vmcnt(0)
	v_add_f64 v[14:15], v[14:15], v[0:1]
	scratch_load_b64 v[0:1], off, off offset:1004 ; 8-byte Folded Reload
	v_add_f64 v[14:15], v[26:27], v[14:15]
	v_fma_f64 v[26:27], v[126:127], s[24:25], v[4:5]
	s_delay_alu instid0(VALU_DEP_1) | instskip(SKIP_1) | instid1(VALU_DEP_1)
	v_add_f64 v[12:13], v[26:27], v[12:13]
	v_fma_f64 v[26:27], v[80:81], s[24:25], -v[16:17]
	v_add_f64 v[14:15], v[26:27], v[14:15]
	v_fma_f64 v[26:27], v[108:109], s[20:21], v[74:75]
	s_delay_alu instid0(VALU_DEP_1) | instskip(SKIP_1) | instid1(VALU_DEP_1)
	v_add_f64 v[12:13], v[26:27], v[12:13]
	v_fma_f64 v[26:27], v[88:89], s[20:21], -v[78:79]
	;; [unrolled: 5-line block ×3, first 2 shown]
	v_add_f64 v[14:15], v[26:27], v[14:15]
	v_fma_f64 v[26:27], v[211:212], s[12:13], v[217:218]
	s_delay_alu instid0(VALU_DEP_1)
	v_add_f64 v[12:13], v[26:27], v[12:13]
	v_fma_f64 v[26:27], v[98:99], s[12:13], -v[176:177]
	s_waitcnt vmcnt(0)
	v_fma_f64 v[16:17], v[92:93], s[10:11], v[0:1]
	scratch_load_b64 v[0:1], off, off offset:1012 ; 8-byte Folded Reload
	v_add_f64 v[26:27], v[26:27], v[14:15]
	v_fma_f64 v[14:15], v[208:209], s[10:11], v[178:179]
	s_delay_alu instid0(VALU_DEP_1) | instskip(NEXT) | instid1(VALU_DEP_3)
	v_add_f64 v[14:15], v[14:15], v[12:13]
	v_add_f64 v[12:13], v[28:29], v[26:27]
	s_waitcnt vmcnt(0)
	v_fma_f64 v[26:27], v[72:73], s[10:11], -v[0:1]
	s_clause 0x1
	scratch_load_b128 v[217:220], off, off offset:676
	scratch_load_b64 v[0:1], off, off offset:1020
	s_waitcnt vmcnt(0)
	v_fma_f64 v[28:29], v[96:97], s[20:21], v[0:1]
	scratch_load_b64 v[0:1], off, off offset:852 ; 8-byte Folded Reload
	s_waitcnt vmcnt(0)
	v_add_f64 v[16:17], v[16:17], v[0:1]
	scratch_load_b64 v[0:1], off, off offset:1028 ; 8-byte Folded Reload
	v_add_f64 v[16:17], v[28:29], v[16:17]
	s_waitcnt vmcnt(0)
	v_fma_f64 v[30:31], v[76:77], s[20:21], -v[0:1]
	s_clause 0x2
	scratch_load_b32 v164, off, off offset:604
	scratch_load_b32 v180, off, off offset:612
	scratch_load_b64 v[0:1], off, off offset:844
	s_waitcnt vmcnt(0)
	v_add_f64 v[26:27], v[26:27], v[0:1]
	scratch_load_b64 v[0:1], off, off offset:1036 ; 8-byte Folded Reload
	v_add_f64 v[26:27], v[30:31], v[26:27]
	s_waitcnt vmcnt(0)
	v_fma_f64 v[32:33], v[126:127], s[2:3], v[0:1]
	scratch_load_b64 v[0:1], off, off offset:1044 ; 8-byte Folded Reload
	v_add_f64 v[16:17], v[32:33], v[16:17]
	s_waitcnt vmcnt(0)
	v_fma_f64 v[28:29], v[80:81], s[2:3], -v[0:1]
	scratch_load_b64 v[0:1], off, off offset:1060 ; 8-byte Folded Reload
	v_add_f64 v[26:27], v[28:29], v[26:27]
	s_waitcnt vmcnt(0)
	v_fma_f64 v[30:31], v[108:109], s[18:19], v[0:1]
	scratch_load_b64 v[0:1], off, off offset:1068 ; 8-byte Folded Reload
	v_add_f64 v[16:17], v[30:31], v[16:17]
	s_waitcnt vmcnt(0)
	v_fma_f64 v[32:33], v[88:89], s[18:19], -v[0:1]
	scratch_load_b64 v[0:1], off, off offset:1076 ; 8-byte Folded Reload
	v_add_f64 v[26:27], v[32:33], v[26:27]
	s_waitcnt vmcnt(0)
	v_fma_f64 v[28:29], v[174:175], s[12:13], v[0:1]
	scratch_load_b64 v[0:1], off, off offset:1092 ; 8-byte Folded Reload
	v_add_f64 v[16:17], v[28:29], v[16:17]
	s_waitcnt vmcnt(0)
	v_fma_f64 v[30:31], v[94:95], s[12:13], -v[0:1]
	scratch_load_b64 v[0:1], off, off offset:1100 ; 8-byte Folded Reload
	v_add_f64 v[26:27], v[30:31], v[26:27]
	s_waitcnt vmcnt(0)
	v_fma_f64 v[32:33], v[211:212], s[16:17], v[0:1]
	scratch_load_b64 v[0:1], off, off offset:1116 ; 8-byte Folded Reload
	v_add_f64 v[16:17], v[32:33], v[16:17]
	s_waitcnt vmcnt(0)
	v_fma_f64 v[28:29], v[98:99], s[16:17], -v[0:1]
	scratch_load_b64 v[0:1], off, off offset:1124 ; 8-byte Folded Reload
	v_add_f64 v[26:27], v[28:29], v[26:27]
	s_waitcnt vmcnt(0)
	v_fma_f64 v[30:31], v[208:209], s[14:15], v[0:1]
	scratch_load_b64 v[0:1], off, off offset:1132 ; 8-byte Folded Reload
	v_add_f64 v[28:29], v[30:31], v[16:17]
	scratch_load_b32 v17, off, off offset:248 ; 4-byte Folded Reload
	v_lshrrev_b32_e32 v16, 1, v234
	s_delay_alu instid0(VALU_DEP_1) | instskip(SKIP_3) | instid1(VALU_DEP_2)
	v_mul_u32_u24_e32 v16, 34, v16
	s_waitcnt vmcnt(1)
	v_fma_f64 v[32:33], v[102:103], s[14:15], -v[0:1]
	s_waitcnt vmcnt(0)
	v_or_b32_e32 v16, v16, v17
	s_delay_alu instid0(VALU_DEP_2) | instskip(NEXT) | instid1(VALU_DEP_2)
	v_add_f64 v[26:27], v[32:33], v[26:27]
	v_lshl_add_u32 v16, v16, 4, v52
	ds_store_b128 v16, v[8:11]
	ds_store_b128 v16, v[250:253] offset:32
	ds_store_b128 v16, v[42:45] offset:64
	;; [unrolled: 1-line block ×7, first 2 shown]
	scratch_load_b128 v[0:3], off, off offset:972 ; 16-byte Folded Reload
	s_waitcnt vmcnt(0)
	ds_store_b128 v16, v[0:3] offset:256
	s_clause 0x1
	scratch_load_b128 v[176:179], off, off offset:620
	scratch_load_b128 v[0:3], off, off offset:956
	s_waitcnt vmcnt(0)
	ds_store_b128 v16, v[0:3] offset:288
	scratch_load_b128 v[0:3], off, off offset:988 ; 16-byte Folded Reload
	s_waitcnt vmcnt(0)
	ds_store_b128 v16, v[0:3] offset:320
	s_clause 0x1
	scratch_load_b128 v[222:225], off, off offset:660
	scratch_load_b128 v[226:229], off, off offset:636
	ds_store_b128 v16, v[114:117] offset:352
	ds_store_b128 v16, v[118:121] offset:384
	;; [unrolled: 1-line block ×6, first 2 shown]
.LBB0_25:
	s_or_b32 exec_lo, exec_lo, s33
	s_waitcnt vmcnt(0) lgkmcnt(0)
	s_waitcnt_vscnt null, 0x0
	s_barrier
	buffer_gl0_inv
	ds_load_b128 v[4:7], v53
	ds_load_b128 v[8:11], v53 offset:1088
	ds_load_b128 v[48:51], v53 offset:9248
	;; [unrolled: 1-line block ×13, first 2 shown]
	s_and_saveexec_b32 s0, vcc_lo
	s_cbranch_execz .LBB0_27
; %bb.26:
	ds_load_b128 v[60:63], v53 offset:7616
	ds_load_b128 v[84:87], v53 offset:15776
.LBB0_27:
	s_or_b32 exec_lo, exec_lo, s0
	s_waitcnt lgkmcnt(3)
	v_mul_f64 v[54:55], v[134:135], v[66:67]
	s_waitcnt lgkmcnt(0)
	s_barrier
	buffer_gl0_inv
	v_fma_f64 v[54:55], v[132:133], v[64:65], v[54:55]
	v_mul_f64 v[64:65], v[134:135], v[64:65]
	s_delay_alu instid0(VALU_DEP_1) | instskip(SKIP_1) | instid1(VALU_DEP_1)
	v_fma_f64 v[64:65], v[132:133], v[66:67], -v[64:65]
	v_mul_f64 v[66:67], v[130:131], v[50:51]
	v_fma_f64 v[66:67], v[128:129], v[48:49], v[66:67]
	v_mul_f64 v[48:49], v[130:131], v[48:49]
	s_delay_alu instid0(VALU_DEP_1) | instskip(SKIP_1) | instid1(VALU_DEP_1)
	v_fma_f64 v[48:49], v[128:129], v[50:51], -v[48:49]
	v_mul_f64 v[50:51], v[146:147], v[46:47]
	;; [unrolled: 5-line block ×3, first 2 shown]
	v_fma_f64 v[46:47], v[136:137], v[36:37], v[46:47]
	v_mul_f64 v[36:37], v[138:139], v[36:37]
	s_delay_alu instid0(VALU_DEP_1) | instskip(SKIP_2) | instid1(VALU_DEP_2)
	v_fma_f64 v[68:69], v[136:137], v[38:39], -v[36:37]
	v_mul_f64 v[36:37], v[191:192], v[34:35]
	v_add_f64 v[38:39], v[18:19], -v[44:45]
	v_fma_f64 v[70:71], v[189:190], v[32:33], v[36:37]
	v_mul_f64 v[32:33], v[191:192], v[32:33]
	v_add_f64 v[36:37], v[16:17], -v[50:51]
	s_delay_alu instid0(VALU_DEP_3) | instskip(NEXT) | instid1(VALU_DEP_3)
	v_add_f64 v[44:45], v[24:25], -v[70:71]
	v_fma_f64 v[72:73], v[189:190], v[34:35], -v[32:33]
	v_mul_f64 v[32:33], v[150:151], v[42:43]
	v_add_f64 v[34:35], v[10:11], -v[48:49]
	v_fma_f64 v[70:71], v[18:19], 2.0, -v[38:39]
	v_add_nc_u32_e32 v19, 0x440, v53
	v_add_nc_u32_e32 v18, 0x880, v53
	v_fma_f64 v[24:25], v[24:25], 2.0, -v[44:45]
	v_fma_f64 v[74:75], v[148:149], v[40:41], v[32:33]
	v_mul_f64 v[32:33], v[150:151], v[40:41]
	v_add_f64 v[40:41], v[12:13], -v[46:47]
	v_add_f64 v[46:47], v[26:27], -v[72:73]
	v_fma_f64 v[10:11], v[10:11], 2.0, -v[34:35]
	v_add_f64 v[48:49], v[20:21], -v[74:75]
	v_fma_f64 v[76:77], v[148:149], v[42:43], -v[32:33]
	v_mul_f64 v[32:33], v[206:207], v[30:31]
	v_add_f64 v[42:43], v[14:15], -v[68:69]
	v_fma_f64 v[68:69], v[16:17], 2.0, -v[36:37]
	v_fma_f64 v[12:13], v[12:13], 2.0, -v[40:41]
	;; [unrolled: 1-line block ×4, first 2 shown]
	v_add_f64 v[50:51], v[22:23], -v[76:77]
	v_fma_f64 v[78:79], v[204:205], v[28:29], v[32:33]
	v_mul_f64 v[28:29], v[206:207], v[28:29]
	v_add_f64 v[32:33], v[8:9], -v[66:67]
	v_fma_f64 v[14:15], v[14:15], 2.0, -v[42:43]
	v_fma_f64 v[22:23], v[22:23], 2.0, -v[50:51]
	s_delay_alu instid0(VALU_DEP_4)
	v_fma_f64 v[80:81], v[204:205], v[30:31], -v[28:29]
	v_add_f64 v[28:29], v[4:5], -v[54:55]
	v_add_f64 v[30:31], v[6:7], -v[64:65]
	;; [unrolled: 1-line block ×3, first 2 shown]
	v_fma_f64 v[8:9], v[8:9], 2.0, -v[32:33]
	v_add_f64 v[66:67], v[2:3], -v[80:81]
	v_fma_f64 v[4:5], v[4:5], 2.0, -v[28:29]
	v_fma_f64 v[6:7], v[6:7], 2.0, -v[30:31]
	;; [unrolled: 1-line block ×3, first 2 shown]
	s_delay_alu instid0(VALU_DEP_4)
	v_fma_f64 v[2:3], v[2:3], 2.0, -v[66:67]
	ds_store_b128 v195, v[28:31] offset:544
	ds_store_b128 v195, v[4:7]
	ds_store_b128 v221, v[8:11]
	ds_store_b128 v221, v[32:35] offset:544
	ds_store_b128 v194, v[68:71]
	ds_store_b128 v194, v[36:39] offset:544
	;; [unrolled: 2-line block ×6, first 2 shown]
	s_and_saveexec_b32 s0, vcc_lo
	s_cbranch_execz .LBB0_29
; %bb.28:
	v_mul_f64 v[0:1], v[219:220], v[84:85]
	v_mul_f64 v[2:3], v[219:220], v[86:87]
	v_lshl_add_u32 v8, v125, 4, v52
	s_delay_alu instid0(VALU_DEP_3) | instskip(NEXT) | instid1(VALU_DEP_3)
	v_fma_f64 v[0:1], v[217:218], v[86:87], -v[0:1]
	v_fma_f64 v[4:5], v[217:218], v[84:85], v[2:3]
	s_delay_alu instid0(VALU_DEP_2) | instskip(NEXT) | instid1(VALU_DEP_2)
	v_add_f64 v[2:3], v[62:63], -v[0:1]
	v_add_f64 v[0:1], v[60:61], -v[4:5]
	s_delay_alu instid0(VALU_DEP_2) | instskip(NEXT) | instid1(VALU_DEP_2)
	v_fma_f64 v[6:7], v[62:63], 2.0, -v[2:3]
	v_fma_f64 v[4:5], v[60:61], 2.0, -v[0:1]
	ds_store_b128 v8, v[4:7] offset:15232
	ds_store_b128 v8, v[0:3] offset:15776
.LBB0_29:
	s_or_b32 exec_lo, exec_lo, s0
	s_waitcnt lgkmcnt(0)
	s_barrier
	buffer_gl0_inv
	ds_load_b128 v[0:3], v53 offset:5440
	ds_load_b128 v[4:7], v53 offset:10880
	ds_load_b128 v[8:11], v53 offset:6528
	ds_load_b128 v[12:15], v53 offset:11968
	ds_load_b128 v[20:23], v53 offset:7616
	ds_load_b128 v[24:27], v53 offset:13056
	ds_load_b128 v[28:31], v53 offset:8704
	ds_load_b128 v[32:35], v53 offset:14144
	ds_load_b128 v[36:39], v53 offset:9792
	ds_load_b128 v[40:43], v53 offset:15232
	ds_load_b128 v[44:47], v53 offset:4352
	scratch_load_b128 v[88:91], off, off offset:356 ; 16-byte Folded Reload
	s_mov_b32 s0, 0xe8584caa
	s_mov_b32 s1, 0xbfebb67a
	s_mov_b32 s3, 0x3febb67a
	s_mov_b32 s2, s0
	s_mov_b32 s10, 0x134454ff
	s_mov_b32 s11, 0xbfee6f0e
	s_mov_b32 s13, 0x3fee6f0e
	s_mov_b32 s12, s10
	s_waitcnt lgkmcnt(10)
	v_mul_f64 v[16:17], v[158:159], v[2:3]
	v_mul_f64 v[48:49], v[158:159], v[0:1]
	s_waitcnt lgkmcnt(9)
	v_mul_f64 v[50:51], v[154:155], v[6:7]
	v_mul_f64 v[54:55], v[154:155], v[4:5]
	;; [unrolled: 3-line block ×6, first 2 shown]
	s_waitcnt lgkmcnt(4)
	v_mul_f64 v[72:73], v[224:225], v[30:31]
	s_waitcnt lgkmcnt(3)
	v_mul_f64 v[74:75], v[232:233], v[34:35]
	v_mul_f64 v[76:77], v[224:225], v[28:29]
	;; [unrolled: 1-line block ×3, first 2 shown]
	s_waitcnt lgkmcnt(1)
	v_mul_f64 v[82:83], v[228:229], v[42:43]
	v_mul_f64 v[86:87], v[228:229], v[40:41]
	v_fma_f64 v[16:17], v[156:157], v[0:1], v[16:17]
	v_fma_f64 v[48:49], v[156:157], v[2:3], -v[48:49]
	v_fma_f64 v[50:51], v[152:153], v[4:5], v[50:51]
	v_fma_f64 v[54:55], v[152:153], v[6:7], -v[54:55]
	;; [unrolled: 2-line block ×6, first 2 shown]
	v_fma_f64 v[28:29], v[222:223], v[28:29], v[72:73]
	v_fma_f64 v[32:33], v[230:231], v[32:33], v[74:75]
	v_fma_f64 v[30:31], v[222:223], v[30:31], -v[76:77]
	v_fma_f64 v[34:35], v[230:231], v[34:35], -v[78:79]
	v_fma_f64 v[40:41], v[226:227], v[40:41], v[82:83]
	v_fma_f64 v[42:43], v[226:227], v[42:43], -v[86:87]
	ds_load_b128 v[0:3], v53
	ds_load_b128 v[4:7], v53 offset:1088
	ds_load_b128 v[8:11], v53 offset:2176
	;; [unrolled: 1-line block ×3, first 2 shown]
	s_waitcnt vmcnt(0) lgkmcnt(0)
	s_barrier
	buffer_gl0_inv
	v_add_f64 v[64:65], v[16:17], v[50:51]
	v_add_f64 v[66:67], v[48:49], v[54:55]
	v_add_f64 v[86:87], v[48:49], -v[54:55]
	v_add_f64 v[48:49], v[2:3], v[48:49]
	v_add_f64 v[68:69], v[56:57], v[60:61]
	;; [unrolled: 1-line block ×11, first 2 shown]
	v_add_f64 v[104:105], v[22:23], -v[26:27]
	v_add_f64 v[106:107], v[20:21], -v[24:25]
	;; [unrolled: 1-line block ×4, first 2 shown]
	v_fma_f64 v[64:65], v[64:65], -0.5, v[0:1]
	v_fma_f64 v[66:67], v[66:67], -0.5, v[2:3]
	v_add_f64 v[2:3], v[48:49], v[54:55]
	v_fma_f64 v[68:69], v[68:69], -0.5, v[4:5]
	v_fma_f64 v[70:71], v[70:71], -0.5, v[6:7]
	;; [unrolled: 1-line block ×4, first 2 shown]
	v_add_f64 v[8:9], v[92:93], v[24:25]
	v_fma_f64 v[76:77], v[76:77], -0.5, v[12:13]
	v_add_f64 v[10:11], v[94:95], v[26:27]
	v_fma_f64 v[78:79], v[78:79], -0.5, v[14:15]
	v_add_f64 v[12:13], v[96:97], v[32:33]
	v_add_f64 v[14:15], v[98:99], v[34:35]
	v_fma_f64 v[24:25], v[86:87], s[0:1], v[64:65]
	v_fma_f64 v[28:29], v[86:87], s[2:3], v[64:65]
	;; [unrolled: 1-line block ×4, first 2 shown]
	v_mul_f64 v[80:81], v[90:91], v[38:39]
	v_mul_f64 v[84:85], v[90:91], v[36:37]
	v_add_f64 v[90:91], v[6:7], v[58:59]
	v_add_f64 v[58:59], v[58:59], -v[62:63]
	s_delay_alu instid0(VALU_DEP_4) | instskip(NEXT) | instid1(VALU_DEP_4)
	v_fma_f64 v[36:37], v[88:89], v[36:37], v[80:81]
	v_fma_f64 v[38:39], v[88:89], v[38:39], -v[84:85]
	v_add_f64 v[84:85], v[0:1], v[16:17]
	v_add_f64 v[16:17], v[16:17], -v[50:51]
	v_add_f64 v[88:89], v[4:5], v[56:57]
	v_add_f64 v[56:57], v[56:57], -v[60:61]
	v_add_f64 v[6:7], v[90:91], v[62:63]
	v_fma_f64 v[32:33], v[58:59], s[0:1], v[68:69]
	v_add_f64 v[80:81], v[36:37], v[40:41]
	v_add_f64 v[82:83], v[38:39], v[42:43]
	v_add_f64 v[100:101], v[44:45], v[36:37]
	v_add_f64 v[102:103], v[46:47], v[38:39]
	v_add_f64 v[112:113], v[38:39], -v[42:43]
	v_add_f64 v[114:115], v[36:37], -v[40:41]
	v_add_f64 v[0:1], v[84:85], v[50:51]
	v_fma_f64 v[26:27], v[16:17], s[2:3], v[66:67]
	v_fma_f64 v[30:31], v[16:17], s[0:1], v[66:67]
	v_add_f64 v[4:5], v[88:89], v[60:61]
	v_fma_f64 v[34:35], v[56:57], s[2:3], v[70:71]
	v_fma_f64 v[36:37], v[58:59], s[2:3], v[68:69]
	;; [unrolled: 1-line block ×5, first 2 shown]
	v_fma_f64 v[80:81], v[80:81], -0.5, v[44:45]
	v_fma_f64 v[82:83], v[82:83], -0.5, v[46:47]
	v_add_f64 v[20:21], v[100:101], v[40:41]
	v_add_f64 v[22:23], v[102:103], v[42:43]
	v_fma_f64 v[40:41], v[104:105], s[0:1], v[72:73]
	v_fma_f64 v[42:43], v[106:107], s[2:3], v[74:75]
	;; [unrolled: 1-line block ×8, first 2 shown]
	s_mov_b32 s0, 0x4755a5e
	s_mov_b32 s1, 0xbfe2cf23
	;; [unrolled: 1-line block ×4, first 2 shown]
	ds_store_b128 v53, v[0:3]
	ds_store_b128 v53, v[24:27] offset:1088
	ds_store_b128 v53, v[28:31] offset:2176
	;; [unrolled: 1-line block ×14, first 2 shown]
	s_waitcnt lgkmcnt(0)
	s_barrier
	buffer_gl0_inv
	ds_load_b128 v[4:7], v53 offset:3264
	ds_load_b128 v[8:11], v53 offset:6528
	;; [unrolled: 1-line block ×13, first 2 shown]
	s_clause 0x4
	scratch_load_b128 v[110:113], off, off offset:388
	scratch_load_b128 v[116:119], off, off offset:420
	;; [unrolled: 1-line block ×5, first 2 shown]
	s_waitcnt lgkmcnt(12)
	v_mul_f64 v[16:17], v[171:172], v[6:7]
	v_mul_f64 v[58:59], v[171:172], v[4:5]
	s_waitcnt lgkmcnt(11)
	v_mul_f64 v[60:61], v[167:168], v[10:11]
	s_waitcnt lgkmcnt(9)
	v_mul_f64 v[68:69], v[198:199], v[22:23]
	v_mul_f64 v[62:63], v[167:168], v[8:9]
	;; [unrolled: 1-line block ×5, first 2 shown]
	v_fma_f64 v[104:105], v[169:170], v[4:5], v[16:17]
	scratch_load_b64 v[4:5], off, off offset:240 ; 8-byte Folded Reload
	v_fma_f64 v[58:59], v[169:170], v[6:7], -v[58:59]
	v_fma_f64 v[6:7], v[196:197], v[20:21], v[68:69]
	v_fma_f64 v[60:61], v[165:166], v[8:9], v[60:61]
	v_fma_f64 v[62:63], v[165:166], v[10:11], -v[62:63]
	v_fma_f64 v[64:65], v[200:201], v[12:13], v[64:65]
	v_fma_f64 v[66:67], v[200:201], v[14:15], -v[66:67]
	v_fma_f64 v[8:9], v[196:197], v[22:23], -v[70:71]
	ds_load_b128 v[20:23], v53
	s_waitcnt vmcnt(5) lgkmcnt(9)
	v_mul_f64 v[72:73], v[112:113], v[26:27]
	v_mul_f64 v[78:79], v[112:113], v[24:25]
	scratch_load_b128 v[112:115], off, off offset:404 ; 16-byte Folded Reload
	s_waitcnt vmcnt(5) lgkmcnt(7)
	v_mul_f64 v[76:77], v[118:119], v[34:35]
	v_mul_f64 v[84:85], v[118:119], v[32:33]
	scratch_load_b128 v[118:121], off, off offset:436 ; 16-byte Folded Reload
	;; [unrolled: 4-line block ×3, first 2 shown]
	s_waitcnt vmcnt(4)
	v_mul_f64 v[74:75], v[108:109], v[30:31]
	v_mul_f64 v[82:83], v[108:109], v[28:29]
	s_waitcnt lgkmcnt(2)
	v_mul_f64 v[92:93], v[130:131], v[50:51]
	v_mul_f64 v[98:99], v[130:131], v[48:49]
	v_add_f64 v[108:109], v[58:59], -v[62:63]
	v_fma_f64 v[68:69], v[110:111], v[24:25], v[72:73]
	v_fma_f64 v[70:71], v[110:111], v[26:27], -v[78:79]
	v_add_f64 v[78:79], v[58:59], v[8:9]
	v_fma_f64 v[32:33], v[116:117], v[32:33], v[76:77]
	v_fma_f64 v[34:35], v[116:117], v[34:35], -v[84:85]
	ds_load_b128 v[24:27], v53 offset:1088
	v_add_f64 v[84:85], v[6:7], -v[64:65]
	v_add_f64 v[76:77], v[62:63], -v[66:67]
	s_waitcnt vmcnt(3)
	v_mov_b32_e32 v52, v4
	v_fma_f64 v[28:29], v[106:107], v[28:29], v[74:75]
	v_fma_f64 v[30:31], v[106:107], v[30:31], -v[82:83]
	v_add_f64 v[74:75], v[62:63], v[66:67]
	v_mad_u64_u32 v[72:73], null, s4, v234, 0
	v_mad_u64_u32 v[4:5], null, s6, v52, 0
	s_mul_i32 s6, s4, 0xfffffe46
	s_waitcnt lgkmcnt(0)
	v_add_f64 v[116:117], v[24:25], v[68:69]
	v_add_f64 v[130:131], v[26:27], v[70:71]
	;; [unrolled: 1-line block ×3, first 2 shown]
	v_add_f64 v[132:133], v[28:29], -v[32:33]
	v_fma_f64 v[74:75], v[74:75], -0.5, v[22:23]
	v_add_f64 v[138:139], v[70:71], -v[30:31]
	s_delay_alu instid0(VALU_DEP_4)
	v_fma_f64 v[82:83], v[82:83], -0.5, v[24:25]
	s_waitcnt vmcnt(2)
	v_mul_f64 v[80:81], v[114:115], v[38:39]
	v_mul_f64 v[86:87], v[114:115], v[36:37]
	v_add_f64 v[114:115], v[66:67], -v[8:9]
	s_waitcnt vmcnt(1)
	v_mul_f64 v[88:89], v[120:121], v[42:43]
	v_mul_f64 v[100:101], v[120:121], v[40:41]
	v_add_f64 v[120:121], v[30:31], -v[34:35]
	;; [unrolled: 4-line block ×3, first 2 shown]
	v_fma_f64 v[10:11], v[112:113], v[36:37], v[80:81]
	v_fma_f64 v[12:13], v[112:113], v[38:39], -v[86:87]
	v_fma_f64 v[38:39], v[122:123], v[44:45], v[90:91]
	v_fma_f64 v[36:37], v[118:119], v[40:41], v[88:89]
	;; [unrolled: 1-line block ×3, first 2 shown]
	v_fma_f64 v[44:45], v[122:123], v[46:47], -v[94:95]
	v_fma_f64 v[14:15], v[124:125], v[54:55], v[96:97]
	v_fma_f64 v[46:47], v[128:129], v[50:51], -v[98:99]
	v_fma_f64 v[42:43], v[118:119], v[42:43], -v[100:101]
	;; [unrolled: 1-line block ×3, first 2 shown]
	v_mad_u64_u32 v[48:49], null, s7, v52, v[5:6]
	v_add_f64 v[49:50], v[60:61], v[64:65]
	v_add_f64 v[54:55], v[104:105], v[6:7]
	;; [unrolled: 1-line block ×5, first 2 shown]
	v_add_f64 v[56:57], v[58:59], -v[8:9]
	v_add_f64 v[80:81], v[104:105], -v[60:61]
	;; [unrolled: 1-line block ×7, first 2 shown]
	v_fma_f64 v[22:23], v[78:79], -0.5, v[22:23]
	v_add_f64 v[122:123], v[68:69], -v[28:29]
	v_add_f64 v[58:59], v[62:63], -v[58:59]
	v_add_f64 v[28:29], v[116:117], v[28:29]
	s_mul_hi_u32 s7, s4, 0x1fe
	v_mov_b32_e32 v5, v48
	s_delay_alu instid0(VALU_DEP_1)
	v_lshlrev_b64 v[4:5], 4, v[4:5]
	v_add_f64 v[86:87], v[68:69], v[10:11]
	v_add_f64 v[94:95], v[70:71], v[12:13]
	v_add_f64 v[118:119], v[70:71], -v[12:13]
	v_add_f64 v[134:135], v[0:1], v[36:37]
	v_add_f64 v[98:99], v[38:39], v[40:41]
	v_add_f64 v[68:69], v[68:69], -v[10:11]
	v_add_f64 v[102:103], v[36:37], v[14:15]
	v_add_f64 v[106:107], v[44:45], v[46:47]
	;; [unrolled: 1-line block ×4, first 2 shown]
	v_add_f64 v[140:141], v[42:43], -v[16:17]
	v_add_f64 v[142:143], v[36:37], -v[38:39]
	v_fma_f64 v[49:50], v[49:50], -0.5, v[20:21]
	v_fma_f64 v[20:21], v[54:55], -0.5, v[20:21]
	;; [unrolled: 1-line block ×3, first 2 shown]
	v_add_f64 v[144:145], v[38:39], -v[36:37]
	v_add_f64 v[36:37], v[36:37], -v[14:15]
	;; [unrolled: 1-line block ×7, first 2 shown]
	v_add_f64 v[51:52], v[51:52], v[60:61]
	v_add_f64 v[62:63], v[96:97], v[62:63]
	v_add_f64 v[70:71], v[30:31], -v[70:71]
	v_add_f64 v[60:61], v[80:81], v[84:85]
	v_add_f64 v[80:81], v[88:89], v[92:93]
	;; [unrolled: 1-line block ×3, first 2 shown]
	v_fma_f64 v[96:97], v[100:101], s[12:13], v[74:75]
	v_add_f64 v[84:85], v[108:109], v[112:113]
	v_fma_f64 v[108:109], v[104:105], s[10:11], v[22:23]
	v_fma_f64 v[22:23], v[104:105], s[12:13], v[22:23]
	;; [unrolled: 1-line block ×3, first 2 shown]
	v_add_f64 v[54:55], v[12:13], -v[34:35]
	v_add_f64 v[78:79], v[34:35], -v[12:13]
	v_add_f64 v[58:59], v[58:59], v[114:115]
	v_add_f64 v[148:149], v[16:17], -v[46:47]
	v_add_f64 v[28:29], v[28:29], v[32:33]
	v_fma_f64 v[24:25], v[86:87], -0.5, v[24:25]
	v_fma_f64 v[26:27], v[94:95], -0.5, v[26:27]
	v_add_f64 v[86:87], v[44:45], -v[46:47]
	v_fma_f64 v[112:113], v[118:119], s[10:11], v[82:83]
	v_fma_f64 v[98:99], v[98:99], -0.5, v[0:1]
	v_fma_f64 v[82:83], v[118:119], s[12:13], v[82:83]
	v_fma_f64 v[0:1], v[102:103], -0.5, v[0:1]
	v_fma_f64 v[102:103], v[106:107], -0.5, v[2:3]
	v_add_f64 v[106:107], v[38:39], -v[40:41]
	v_fma_f64 v[2:3], v[110:111], -0.5, v[2:3]
	v_add_f64 v[38:39], v[134:135], v[38:39]
	v_add_f64 v[44:45], v[136:137], v[44:45]
	v_fma_f64 v[88:89], v[56:57], s[10:11], v[49:50]
	v_fma_f64 v[49:50], v[56:57], s[12:13], v[49:50]
	v_fma_f64 v[92:93], v[76:77], s[12:13], v[20:21]
	v_fma_f64 v[20:21], v[76:77], s[10:11], v[20:21]
	v_fma_f64 v[116:117], v[68:69], s[12:13], v[90:91]
	v_fma_f64 v[90:91], v[68:69], s[10:11], v[90:91]
	v_add_f64 v[94:95], v[14:15], -v[40:41]
	v_add_f64 v[110:111], v[40:41], -v[14:15]
	v_add_f64 v[122:123], v[122:123], v[124:125]
	v_add_f64 v[124:125], v[126:127], v[128:129]
	;; [unrolled: 1-line block ×6, first 2 shown]
	v_fma_f64 v[62:63], v[100:101], s[2:3], v[108:109]
	v_fma_f64 v[64:65], v[100:101], s[0:1], v[22:23]
	v_add_f64 v[54:55], v[138:139], v[54:55]
	v_add_f64 v[70:71], v[70:71], v[78:79]
	v_fma_f64 v[114:115], v[120:121], s[12:13], v[24:25]
	v_fma_f64 v[130:131], v[132:133], s[10:11], v[26:27]
	;; [unrolled: 1-line block ×12, first 2 shown]
	v_add_f64 v[32:33], v[38:39], v[40:41]
	v_add_f64 v[34:35], v[44:45], v[46:47]
	v_fma_f64 v[38:39], v[76:77], s[0:1], v[88:89]
	v_fma_f64 v[40:41], v[76:77], s[2:3], v[49:50]
	v_fma_f64 v[49:50], v[104:105], s[2:3], v[96:97]
	v_fma_f64 v[44:45], v[56:57], s[0:1], v[92:93]
	v_fma_f64 v[46:47], v[56:57], s[2:3], v[20:21]
	v_fma_f64 v[56:57], v[104:105], s[0:1], v[74:75]
	v_fma_f64 v[66:67], v[120:121], s[0:1], v[112:113]
	v_fma_f64 v[88:89], v[132:133], s[2:3], v[116:117]
	v_fma_f64 v[74:75], v[120:121], s[2:3], v[82:83]
	v_fma_f64 v[90:91], v[132:133], s[0:1], v[90:91]
	v_add_f64 v[78:79], v[142:143], v[94:95]
	v_add_f64 v[94:95], v[144:145], v[110:111]
	;; [unrolled: 1-line block ×3, first 2 shown]
	v_fma_f64 v[76:77], v[118:119], s[0:1], v[114:115]
	v_fma_f64 v[92:93], v[68:69], s[2:3], v[130:131]
	v_fma_f64 v[82:83], v[118:119], s[2:3], v[24:25]
	v_fma_f64 v[68:69], v[68:69], s[0:1], v[26:27]
	v_fma_f64 v[96:97], v[86:87], s[0:1], v[134:135]
	v_fma_f64 v[86:87], v[86:87], s[2:3], v[98:99]
	v_fma_f64 v[98:99], v[140:141], s[0:1], v[136:137]
	v_fma_f64 v[104:105], v[106:107], s[2:3], v[152:153]
	v_fma_f64 v[102:103], v[106:107], s[0:1], v[102:103]
	v_fma_f64 v[106:107], v[36:37], s[2:3], v[154:155]
	v_fma_f64 v[100:101], v[140:141], s[2:3], v[0:1]
	v_fma_f64 v[108:109], v[36:37], s[0:1], v[2:3]
	v_mov_b32_e32 v0, v73
	s_mov_b32 s0, 0x372fe950
	s_mov_b32 s1, 0x3fd3c6ef
	v_add_f64 v[2:3], v[51:52], v[8:9]
	v_add_f64 v[8:9], v[30:31], v[12:13]
	v_mad_u64_u32 v[112:113], null, s5, v234, v[0:1]
	v_add_f64 v[0:1], v[42:43], v[6:7]
	v_add_f64 v[6:7], v[28:29], v[10:11]
	;; [unrolled: 1-line block ×4, first 2 shown]
	v_fma_f64 v[14:15], v[60:61], s[0:1], v[38:39]
	v_fma_f64 v[16:17], v[84:85], s[0:1], v[49:50]
	;; [unrolled: 1-line block ×12, first 2 shown]
	v_mov_b32_e32 v73, v112
	s_mul_i32 s2, s4, 0x1fe
	s_mul_i32 s3, s5, 0x1fe
	v_fma_f64 v[40:41], v[124:125], s[0:1], v[76:77]
	v_fma_f64 v[42:43], v[70:71], s[0:1], v[92:93]
	;; [unrolled: 1-line block ×12, first 2 shown]
	s_mul_hi_u32 s0, s4, 0xfffffe46
	v_lshlrev_b64 v[66:67], 4, v[72:73]
	s_sub_i32 s4, s0, s4
	v_add_co_u32 v4, s0, s8, v4
	s_delay_alu instid0(VALU_DEP_1)
	v_add_co_ci_u32_e64 v5, s0, s9, v5, s0
	ds_store_b128 v53, v[0:3]
	ds_store_b128 v53, v[14:17] offset:3264
	ds_store_b128 v53, v[24:27] offset:6528
	ds_store_b128 v173, v[28:31] offset:9792
	ds_store_b128 v173, v[20:23] offset:13056
	ds_store_b128 v19, v[32:35] offset:3264
	ds_store_b128 v19, v[40:43] offset:6528
	ds_store_b128 v19, v[44:47] offset:9792
	ds_store_b128 v19, v[36:39] offset:13056
	ds_store_b128 v53, v[6:9] offset:1088
	ds_store_b128 v53, v[10:13] offset:2176
	ds_store_b128 v18, v[48:51] offset:3264
	ds_store_b128 v18, v[58:61] offset:6528
	ds_store_b128 v18, v[62:65] offset:9792
	ds_store_b128 v18, v[54:57] offset:13056
	v_add_co_u32 v66, s0, v4, v66
	s_delay_alu instid0(VALU_DEP_1)
	v_add_co_ci_u32_e64 v67, s0, v5, v67, s0
	s_waitcnt lgkmcnt(0)
	s_barrier
	buffer_gl0_inv
	ds_load_b128 v[0:3], v53
	ds_load_b128 v[4:7], v53 offset:8160
	ds_load_b128 v[8:11], v53 offset:1088
	;; [unrolled: 1-line block ×13, first 2 shown]
	s_clause 0x3
	scratch_load_b128 v[128:131], off, off offset:8
	scratch_load_b128 v[140:143], off, off offset:96
	;; [unrolled: 1-line block ×4, first 2 shown]
	s_add_i32 s3, s7, s3
	s_mul_i32 s1, s5, 0xfffffe46
	s_lshl_b64 s[2:3], s[2:3], 4
	s_add_i32 s7, s4, s1
	v_add_co_u32 v68, s0, v66, s2
	s_delay_alu instid0(VALU_DEP_1) | instskip(SKIP_2) | instid1(VALU_DEP_2)
	v_add_co_ci_u32_e64 v69, s0, s3, v67, s0
	s_lshl_b64 s[4:5], s[6:7], 4
	s_mov_b32 s6, 0x10101010
	v_add_co_u32 v62, s0, v68, s4
	s_delay_alu instid0(VALU_DEP_1) | instskip(SKIP_1) | instid1(VALU_DEP_2)
	v_add_co_ci_u32_e64 v63, s0, s5, v69, s0
	s_mov_b32 s7, 0x3f501010
	v_add_co_u32 v64, s0, v62, s2
	s_delay_alu instid0(VALU_DEP_1) | instskip(SKIP_2) | instid1(VALU_DEP_1)
	v_add_co_ci_u32_e64 v65, s0, s3, v63, s0
	scratch_load_b128 v[144:147], off, off offset:112 ; 16-byte Folded Reload
	v_add_co_u32 v122, s0, v64, s4
	v_add_co_ci_u32_e64 v123, s0, s5, v65, s0
	s_delay_alu instid0(VALU_DEP_2) | instskip(NEXT) | instid1(VALU_DEP_1)
	v_add_co_u32 v124, s0, v122, s2
	v_add_co_ci_u32_e64 v125, s0, s3, v123, s0
	s_delay_alu instid0(VALU_DEP_2) | instskip(NEXT) | instid1(VALU_DEP_1)
	v_add_co_u32 v126, s0, v124, s4
	v_add_co_ci_u32_e64 v127, s0, s5, v125, s0
	s_waitcnt vmcnt(4) lgkmcnt(13)
	v_mul_f64 v[58:59], v[130:131], v[2:3]
	v_mul_f64 v[60:61], v[130:131], v[0:1]
	scratch_load_b128 v[130:133], off, off offset:24 ; 16-byte Folded Reload
	s_waitcnt vmcnt(3) lgkmcnt(5)
	v_mul_f64 v[102:103], v[158:159], v[34:35]
	v_mul_f64 v[104:105], v[158:159], v[32:33]
	scratch_load_b128 v[158:161], off, off offset:192 ; 16-byte Folded Reload
	v_mul_f64 v[86:87], v[142:143], v[22:23]
	v_mul_f64 v[88:89], v[142:143], v[20:21]
	s_waitcnt vmcnt(2)
	v_mul_f64 v[78:79], v[146:147], v[18:19]
	v_mul_f64 v[80:81], v[146:147], v[16:17]
	v_fma_f64 v[0:1], v[128:129], v[0:1], v[58:59]
	v_fma_f64 v[58:59], v[128:129], v[2:3], -v[60:61]
	s_delay_alu instid0(VALU_DEP_4) | instskip(NEXT) | instid1(VALU_DEP_4)
	v_fma_f64 v[16:17], v[144:145], v[16:17], v[78:79]
	v_fma_f64 v[18:19], v[144:145], v[18:19], -v[80:81]
	v_fma_f64 v[80:81], v[140:141], v[20:21], v[86:87]
	v_mul_f64 v[2:3], v[0:1], s[6:7]
	s_waitcnt vmcnt(1)
	v_mul_f64 v[74:75], v[132:133], v[10:11]
	v_mul_f64 v[76:77], v[132:133], v[8:9]
	scratch_load_b128 v[132:135], off, off offset:48 ; 16-byte Folded Reload
	v_mul_f64 v[70:71], v[150:151], v[6:7]
	v_mul_f64 v[72:73], v[150:151], v[4:5]
	s_waitcnt vmcnt(1) lgkmcnt(1)
	v_mul_f64 v[110:111], v[160:161], v[50:51]
	v_mul_f64 v[112:113], v[160:161], v[48:49]
	s_clause 0x1
	scratch_load_b128 v[160:163], off, off offset:208
	scratch_load_b128 v[150:153], off, off offset:144
	v_fma_f64 v[60:61], v[148:149], v[4:5], v[70:71]
	v_fma_f64 v[70:71], v[148:149], v[6:7], -v[72:73]
	v_fma_f64 v[72:73], v[130:131], v[8:9], v[74:75]
	v_fma_f64 v[74:75], v[130:131], v[10:11], -v[76:77]
	;; [unrolled: 2-line block ×3, first 2 shown]
	v_mul_f64 v[4:5], v[58:59], s[6:7]
	v_mul_f64 v[6:7], v[60:61], s[6:7]
	;; [unrolled: 1-line block ×4, first 2 shown]
	s_waitcnt vmcnt(2)
	v_mul_f64 v[82:83], v[134:135], v[14:15]
	v_mul_f64 v[84:85], v[134:135], v[12:13]
	scratch_load_b128 v[134:137], off, off offset:64 ; 16-byte Folded Reload
	s_waitcnt vmcnt(2)
	v_mul_f64 v[114:115], v[162:163], v[46:47]
	v_mul_f64 v[116:117], v[162:163], v[44:45]
	scratch_load_b128 v[162:165], off, off offset:224 ; 16-byte Folded Reload
	;; [unrolled: 4-line block ×3, first 2 shown]
	v_fma_f64 v[76:77], v[132:133], v[12:13], v[82:83]
	v_fma_f64 v[78:79], v[132:133], v[14:15], -v[84:85]
	v_fma_f64 v[82:83], v[140:141], v[22:23], -v[88:89]
	v_mul_f64 v[12:13], v[74:75], s[6:7]
	v_mul_f64 v[14:15], v[16:17], s[6:7]
	;; [unrolled: 1-line block ×4, first 2 shown]
	v_fma_f64 v[36:37], v[150:151], v[36:37], v[98:99]
	v_fma_f64 v[38:39], v[150:151], v[38:39], -v[100:101]
	v_fma_f64 v[100:101], v[160:161], v[44:45], v[114:115]
	v_mul_f64 v[18:19], v[76:77], s[6:7]
	v_mul_f64 v[20:21], v[78:79], s[6:7]
	s_waitcnt vmcnt(2)
	v_mul_f64 v[90:91], v[136:137], v[26:27]
	v_mul_f64 v[92:93], v[136:137], v[24:25]
	scratch_load_b128 v[136:139], off, off offset:80 ; 16-byte Folded Reload
	s_waitcnt vmcnt(2) lgkmcnt(0)
	v_mul_f64 v[118:119], v[164:165], v[56:57]
	v_mul_f64 v[120:121], v[164:165], v[54:55]
	s_waitcnt vmcnt(1)
	v_mul_f64 v[106:107], v[154:155], v[42:43]
	v_mul_f64 v[108:109], v[154:155], v[40:41]
	v_fma_f64 v[84:85], v[134:135], v[24:25], v[90:91]
	v_fma_f64 v[86:87], v[134:135], v[26:27], -v[92:93]
	v_fma_f64 v[92:93], v[156:157], v[32:33], v[102:103]
	v_fma_f64 v[102:103], v[160:161], v[46:47], -v[116:117]
	v_mul_f64 v[24:25], v[82:83], s[6:7]
	v_mul_f64 v[46:47], v[48:49], s[6:7]
	v_mul_f64 v[48:49], v[50:51], s[6:7]
	v_fma_f64 v[98:99], v[152:153], v[42:43], -v[108:109]
	v_add_co_u32 v108, s0, v126, s2
	s_delay_alu instid0(VALU_DEP_1) | instskip(NEXT) | instid1(VALU_DEP_2)
	v_add_co_ci_u32_e64 v109, s0, s3, v127, s0
	v_add_co_u32 v110, s0, v108, s4
	s_delay_alu instid0(VALU_DEP_1) | instskip(NEXT) | instid1(VALU_DEP_2)
	v_add_co_ci_u32_e64 v111, s0, s5, v109, s0
	;; [unrolled: 3-line block ×5, first 2 shown]
	v_add_co_u32 v74, s0, v72, s4
	s_delay_alu instid0(VALU_DEP_1) | instskip(SKIP_1) | instid1(VALU_DEP_3)
	v_add_co_ci_u32_e64 v75, s0, s5, v73, s0
	v_mul_f64 v[26:27], v[84:85], s[6:7]
	v_add_co_u32 v0, s0, v74, s2
	s_delay_alu instid0(VALU_DEP_1) | instskip(SKIP_4) | instid1(VALU_DEP_2)
	v_add_co_ci_u32_e64 v1, s0, s3, v75, s0
	v_mul_f64 v[44:45], v[98:99], s[6:7]
	s_waitcnt vmcnt(0)
	v_mul_f64 v[94:95], v[138:139], v[30:31]
	v_mul_f64 v[96:97], v[138:139], v[28:29]
	v_fma_f64 v[88:89], v[136:137], v[28:29], v[94:95]
	s_delay_alu instid0(VALU_DEP_2)
	v_fma_f64 v[90:91], v[136:137], v[30:31], -v[96:97]
	v_fma_f64 v[94:95], v[156:157], v[34:35], -v[104:105]
	v_fma_f64 v[96:97], v[152:153], v[40:41], v[106:107]
	v_fma_f64 v[104:105], v[162:163], v[54:55], v[118:119]
	v_fma_f64 v[106:107], v[162:163], v[56:57], -v[120:121]
	v_mul_f64 v[28:29], v[86:87], s[6:7]
	v_mul_f64 v[34:35], v[36:37], s[6:7]
	;; [unrolled: 1-line block ×12, first 2 shown]
	s_clause 0x4
	global_store_b128 v[66:67], v[2:5], off
	global_store_b128 v[68:69], v[6:9], off
	;; [unrolled: 1-line block ×14, first 2 shown]
	s_and_b32 exec_lo, exec_lo, vcc_lo
	s_cbranch_execz .LBB0_31
; %bb.30:
	scratch_load_b64 v[2:3], off, off offset:40 ; 8-byte Folded Reload
	s_waitcnt vmcnt(0)
	global_load_b128 v[2:5], v[2:3], off offset:3520
	ds_load_b128 v[6:9], v53 offset:7616
	ds_load_b128 v[10:13], v53 offset:15776
	s_waitcnt vmcnt(0) lgkmcnt(1)
	v_mul_f64 v[14:15], v[8:9], v[4:5]
	v_mul_f64 v[4:5], v[6:7], v[4:5]
	s_delay_alu instid0(VALU_DEP_2) | instskip(NEXT) | instid1(VALU_DEP_2)
	v_fma_f64 v[6:7], v[6:7], v[2:3], v[14:15]
	v_fma_f64 v[4:5], v[2:3], v[8:9], -v[4:5]
	s_delay_alu instid0(VALU_DEP_2)
	v_mul_f64 v[2:3], v[6:7], s[6:7]
	v_add_co_u32 v6, vcc_lo, v0, s4
	v_add_co_ci_u32_e32 v7, vcc_lo, s5, v1, vcc_lo
	scratch_load_b64 v[0:1], off, off       ; 8-byte Folded Reload
	v_mul_f64 v[4:5], v[4:5], s[6:7]
	global_store_b128 v[6:7], v[2:5], off
	s_waitcnt vmcnt(0)
	global_load_b128 v[0:3], v[0:1], off offset:3488
	s_waitcnt vmcnt(0) lgkmcnt(0)
	v_mul_f64 v[4:5], v[12:13], v[2:3]
	v_mul_f64 v[2:3], v[10:11], v[2:3]
	s_delay_alu instid0(VALU_DEP_2) | instskip(NEXT) | instid1(VALU_DEP_2)
	v_fma_f64 v[4:5], v[10:11], v[0:1], v[4:5]
	v_fma_f64 v[2:3], v[0:1], v[12:13], -v[2:3]
	s_delay_alu instid0(VALU_DEP_2) | instskip(NEXT) | instid1(VALU_DEP_2)
	v_mul_f64 v[0:1], v[4:5], s[6:7]
	v_mul_f64 v[2:3], v[2:3], s[6:7]
	v_add_co_u32 v4, vcc_lo, v6, s2
	v_add_co_ci_u32_e32 v5, vcc_lo, s3, v7, vcc_lo
	global_store_b128 v[4:5], v[0:3], off
.LBB0_31:
	s_nop 0
	s_sendmsg sendmsg(MSG_DEALLOC_VGPRS)
	s_endpgm
	.section	.rodata,"a",@progbits
	.p2align	6, 0x0
	.amdhsa_kernel bluestein_single_back_len1020_dim1_dp_op_CI_CI
		.amdhsa_group_segment_fixed_size 48960
		.amdhsa_private_segment_fixed_size 1192
		.amdhsa_kernarg_size 104
		.amdhsa_user_sgpr_count 15
		.amdhsa_user_sgpr_dispatch_ptr 0
		.amdhsa_user_sgpr_queue_ptr 0
		.amdhsa_user_sgpr_kernarg_segment_ptr 1
		.amdhsa_user_sgpr_dispatch_id 0
		.amdhsa_user_sgpr_private_segment_size 0
		.amdhsa_wavefront_size32 1
		.amdhsa_uses_dynamic_stack 0
		.amdhsa_enable_private_segment 1
		.amdhsa_system_sgpr_workgroup_id_x 1
		.amdhsa_system_sgpr_workgroup_id_y 0
		.amdhsa_system_sgpr_workgroup_id_z 0
		.amdhsa_system_sgpr_workgroup_info 0
		.amdhsa_system_vgpr_workitem_id 0
		.amdhsa_next_free_vgpr 256
		.amdhsa_next_free_sgpr 60
		.amdhsa_reserve_vcc 1
		.amdhsa_float_round_mode_32 0
		.amdhsa_float_round_mode_16_64 0
		.amdhsa_float_denorm_mode_32 3
		.amdhsa_float_denorm_mode_16_64 3
		.amdhsa_dx10_clamp 1
		.amdhsa_ieee_mode 1
		.amdhsa_fp16_overflow 0
		.amdhsa_workgroup_processor_mode 1
		.amdhsa_memory_ordered 1
		.amdhsa_forward_progress 0
		.amdhsa_shared_vgpr_count 0
		.amdhsa_exception_fp_ieee_invalid_op 0
		.amdhsa_exception_fp_denorm_src 0
		.amdhsa_exception_fp_ieee_div_zero 0
		.amdhsa_exception_fp_ieee_overflow 0
		.amdhsa_exception_fp_ieee_underflow 0
		.amdhsa_exception_fp_ieee_inexact 0
		.amdhsa_exception_int_div_zero 0
	.end_amdhsa_kernel
	.text
.Lfunc_end0:
	.size	bluestein_single_back_len1020_dim1_dp_op_CI_CI, .Lfunc_end0-bluestein_single_back_len1020_dim1_dp_op_CI_CI
                                        ; -- End function
	.section	.AMDGPU.csdata,"",@progbits
; Kernel info:
; codeLenInByte = 35360
; NumSgprs: 62
; NumVgprs: 256
; ScratchSize: 1192
; MemoryBound: 0
; FloatMode: 240
; IeeeMode: 1
; LDSByteSize: 48960 bytes/workgroup (compile time only)
; SGPRBlocks: 7
; VGPRBlocks: 31
; NumSGPRsForWavesPerEU: 62
; NumVGPRsForWavesPerEU: 256
; Occupancy: 4
; WaveLimiterHint : 1
; COMPUTE_PGM_RSRC2:SCRATCH_EN: 1
; COMPUTE_PGM_RSRC2:USER_SGPR: 15
; COMPUTE_PGM_RSRC2:TRAP_HANDLER: 0
; COMPUTE_PGM_RSRC2:TGID_X_EN: 1
; COMPUTE_PGM_RSRC2:TGID_Y_EN: 0
; COMPUTE_PGM_RSRC2:TGID_Z_EN: 0
; COMPUTE_PGM_RSRC2:TIDIG_COMP_CNT: 0
	.text
	.p2alignl 7, 3214868480
	.fill 96, 4, 3214868480
	.type	__hip_cuid_eccf661eafee303b,@object ; @__hip_cuid_eccf661eafee303b
	.section	.bss,"aw",@nobits
	.globl	__hip_cuid_eccf661eafee303b
__hip_cuid_eccf661eafee303b:
	.byte	0                               ; 0x0
	.size	__hip_cuid_eccf661eafee303b, 1

	.ident	"AMD clang version 19.0.0git (https://github.com/RadeonOpenCompute/llvm-project roc-6.4.0 25133 c7fe45cf4b819c5991fe208aaa96edf142730f1d)"
	.section	".note.GNU-stack","",@progbits
	.addrsig
	.addrsig_sym __hip_cuid_eccf661eafee303b
	.amdgpu_metadata
---
amdhsa.kernels:
  - .args:
      - .actual_access:  read_only
        .address_space:  global
        .offset:         0
        .size:           8
        .value_kind:     global_buffer
      - .actual_access:  read_only
        .address_space:  global
        .offset:         8
        .size:           8
        .value_kind:     global_buffer
      - .actual_access:  read_only
        .address_space:  global
        .offset:         16
        .size:           8
        .value_kind:     global_buffer
      - .actual_access:  read_only
        .address_space:  global
        .offset:         24
        .size:           8
        .value_kind:     global_buffer
      - .actual_access:  read_only
        .address_space:  global
        .offset:         32
        .size:           8
        .value_kind:     global_buffer
      - .offset:         40
        .size:           8
        .value_kind:     by_value
      - .address_space:  global
        .offset:         48
        .size:           8
        .value_kind:     global_buffer
      - .address_space:  global
        .offset:         56
        .size:           8
        .value_kind:     global_buffer
      - .address_space:  global
        .offset:         64
        .size:           8
        .value_kind:     global_buffer
      - .address_space:  global
        .offset:         72
        .size:           8
        .value_kind:     global_buffer
      - .offset:         80
        .size:           4
        .value_kind:     by_value
      - .address_space:  global
        .offset:         88
        .size:           8
        .value_kind:     global_buffer
      - .address_space:  global
        .offset:         96
        .size:           8
        .value_kind:     global_buffer
    .group_segment_fixed_size: 48960
    .kernarg_segment_align: 8
    .kernarg_segment_size: 104
    .language:       OpenCL C
    .language_version:
      - 2
      - 0
    .max_flat_workgroup_size: 204
    .name:           bluestein_single_back_len1020_dim1_dp_op_CI_CI
    .private_segment_fixed_size: 1192
    .sgpr_count:     62
    .sgpr_spill_count: 0
    .symbol:         bluestein_single_back_len1020_dim1_dp_op_CI_CI.kd
    .uniform_work_group_size: 1
    .uses_dynamic_stack: false
    .vgpr_count:     256
    .vgpr_spill_count: 420
    .wavefront_size: 32
    .workgroup_processor_mode: 1
amdhsa.target:   amdgcn-amd-amdhsa--gfx1100
amdhsa.version:
  - 1
  - 2
...

	.end_amdgpu_metadata
